;; amdgpu-corpus repo=ROCm/rccl kind=compiled arch=gfx90a opt=O3
	.text
	.amdgcn_target "amdgcn-amd-amdhsa--gfx90a"
	.amdhsa_code_object_version 6
	.p2align	2                               ; -- Begin function _ZN12_GLOBAL__N_17runRingI14__hip_fp8_e4m38FuncProdIS1_E7ProtoLLLi0ELi1ELi0EEEviiP15ncclDevWorkColl
	.type	_ZN12_GLOBAL__N_17runRingI14__hip_fp8_e4m38FuncProdIS1_E7ProtoLLLi0ELi1ELi0EEEviiP15ncclDevWorkColl,@function
_ZN12_GLOBAL__N_17runRingI14__hip_fp8_e4m38FuncProdIS1_E7ProtoLLLi0ELi1ELi0EEEviiP15ncclDevWorkColl: ; @_ZN12_GLOBAL__N_17runRingI14__hip_fp8_e4m38FuncProdIS1_E7ProtoLLLi0ELi1ELi0EEEviiP15ncclDevWorkColl
; %bb.0:
	s_waitcnt vmcnt(0) expcnt(0) lgkmcnt(0)
	s_or_saveexec_b64 s[4:5], -1
	buffer_store_dword v63, off, s[0:3], s32 offset:116 ; 4-byte Folded Spill
	s_mov_b64 exec, s[4:5]
	buffer_store_dword v40, off, s[0:3], s32 offset:112 ; 4-byte Folded Spill
	buffer_store_dword v41, off, s[0:3], s32 offset:108 ; 4-byte Folded Spill
	;; [unrolled: 1-line block ×28, first 2 shown]
	buffer_store_dword a45, off, s[0:3], s32 ; 4-byte Folded Spill
	v_writelane_b32 v63, s34, 0
	v_writelane_b32 v63, s35, 1
	;; [unrolled: 1-line block ×39, first 2 shown]
	v_mov_b32_e32 v20, v1
	v_mov_b32_e32 v44, v0
	s_trap 2
	flat_load_dword v7, v[2:3]
	flat_load_dwordx4 v[22:25], v[2:3] offset:72
	flat_load_dwordx2 v[0:1], v[2:3] offset:88
                                        ; implicit-def: $agpr6_agpr7
	s_waitcnt vmcnt(0) lgkmcnt(0)
	ds_read_b32 v5, v0
	ds_read_b64 a[4:5], v0
	v_not_b32_sdwa v6, v7 dst_sel:DWORD dst_unused:UNUSED_PAD src0_sel:BYTE_0
	v_add_u32_sdwa v4, v7, v6 dst_sel:DWORD dst_unused:UNUSED_PAD src0_sel:BYTE_1 src1_sel:DWORD
	v_ashrrev_i32_e32 v10, 31, v4
	v_mul_lo_u32 v11, v25, v4
	v_mad_u64_u32 v[8:9], s[4:5], v24, v4, 0
	v_mul_lo_u32 v4, v24, v10
	s_waitcnt lgkmcnt(1)
	v_readfirstlane_b32 s20, v5
	v_add3_u32 v4, v9, v4, v11
	v_cmp_ne_u32_sdwa s[4:5], v7, v5 src0_sel:BYTE_0 src1_sel:DWORD
                                        ; implicit-def: $vgpr10_vgpr11
	s_and_saveexec_b64 s[6:7], s[4:5]
	s_xor_b64 s[4:5], exec, s[6:7]
	s_cbranch_execz .LBB0_6
; %bb.1:
	v_cmp_ne_u32_sdwa s[6:7], v7, v5 src0_sel:BYTE_1 src1_sel:DWORD
                                        ; implicit-def: $vgpr10_vgpr11
                                        ; implicit-def: $agpr6_agpr7
	s_and_saveexec_b64 s[10:11], s[6:7]
	s_xor_b64 s[6:7], exec, s[10:11]
	s_cbranch_execz .LBB0_3
; %bb.2:
	flat_load_dwordx2 v[10:11], v[2:3] offset:96
	v_add_u32_e32 v5, v5, v6
	v_ashrrev_i32_e32 v6, 31, v5
	v_mul_lo_u32 v6, v24, v6
	v_mul_lo_u32 v7, v25, v5
	v_mad_u64_u32 v[12:13], s[10:11], v24, v5, v[22:23]
	v_add3_u32 v13, v7, v13, v6
	v_accvgpr_write_b32 a6, v12
	v_accvgpr_write_b32 a7, v13
	s_waitcnt vmcnt(0) lgkmcnt(0)
	v_lshrrev_b64 v[10:11], 17, v[10:11]
.LBB0_3:
	s_andn2_saveexec_b64 s[6:7], s[6:7]
	s_cbranch_execz .LBB0_5
; %bb.4:
	flat_load_dword v5, v[2:3] offset:100
	v_add_co_u32_e32 v6, vcc, v8, v22
	v_addc_co_u32_e32 v7, vcc, v4, v23, vcc
	v_accvgpr_write_b32 a6, v6
	v_accvgpr_write_b32 a7, v7
	v_pk_mov_b32 v[24:25], v[0:1], v[0:1] op_sel:[0,1]
	s_waitcnt vmcnt(0) lgkmcnt(0)
	v_lshrrev_b32_e32 v10, 6, v5
.LBB0_5:
	s_or_b64 exec, exec, s[6:7]
.LBB0_6:
	s_andn2_saveexec_b64 s[4:5], s[4:5]
	s_cbranch_execz .LBB0_8
; %bb.7:
	flat_load_dwordx2 v[6:7], v[2:3] offset:96
	v_pk_mov_b32 v[10:11], 0, 0
	v_accvgpr_write_b32 a6, v10
	v_accvgpr_write_b32 a7, v11
	v_pk_mov_b32 v[24:25], v[22:23], v[22:23] op_sel:[0,1]
	s_waitcnt vmcnt(0) lgkmcnt(0)
	v_lshlrev_b64 v[10:11], 4, v[6:7]
.LBB0_8:
	s_or_b64 exec, exec, s[4:5]
	flat_load_ushort v7, v[2:3] offset:8
	flat_load_dword v6, v[2:3] offset:4
	s_load_dword s4, s[8:9], 0x0
	flat_load_dwordx4 a[8:11], v[2:3] offset:16
	v_mov_b32_e32 v3, 0
	v_ashrrev_i32_e32 v45, 31, v44
	v_lshrrev_b32_e32 v2, 26, v45
	s_waitcnt lgkmcnt(0)
	s_cmp_lt_u32 s12, s4
	s_cselect_b32 s4, 12, 18
	s_add_u32 s4, s8, s4
	s_addc_u32 s5, s9, 0
	global_load_ushort v9, v3, s[4:5]
	v_add_u32_e32 v5, v44, v2
	s_trap 2
	ds_read_b32 v2, v0
	v_and_b32_e32 v5, 0xffffffc0, v5
	v_sub_u32_e32 v5, v44, v5
	s_mov_b32 s6, 0
	v_pk_mov_b32 v[18:19], 0, 0
	s_waitcnt lgkmcnt(0)
	v_cmp_gt_i32_e32 vcc, 0, v2
	v_readfirstlane_b32 s8, v2
	s_and_b64 vcc, exec, vcc
	v_cmp_eq_u32_e64 s[4:5], 0, v5
	s_waitcnt vmcnt(0)
	v_lshrrev_b64 v[6:7], 31, v[6:7]
	v_and_b32_e32 v6, 3, v6
	s_cbranch_vccnz .LBB0_10
; %bb.9:
	s_trap 2
	ds_read_b64 v[12:13], v0
	v_lshlrev_b64 v[2:3], 3, v[2:3]
	v_and_b32_e32 v7, 0xffff, v6
	s_movk_i32 s6, 0xa8
	s_waitcnt lgkmcnt(0)
	v_add_co_u32_e32 v2, vcc, v12, v2
	v_addc_co_u32_e32 v3, vcc, v13, v3, vcc
	flat_load_dwordx2 v[2:3], v[2:3]
	s_waitcnt vmcnt(0) lgkmcnt(0)
	v_mad_u64_u32 v[2:3], s[6:7], v7, s6, v[2:3]
	flat_load_dwordx2 a[16:17], v[2:3] offset:504
	flat_load_dwordx2 v[34:35], v[2:3] offset:608
	v_add_co_u32_e32 v2, vcc, 0x1f8, v2
	v_addc_co_u32_e32 v3, vcc, 0, v3, vcc
	v_cndmask_b32_e64 v27, 0, v3, s[4:5]
	v_cndmask_b32_e64 v26, 0, v2, s[4:5]
	s_mov_b32 s6, 1
	s_branch .LBB0_11
.LBB0_10:
	v_pk_mov_b32 v[26:27], v[18:19], v[18:19] op_sel:[0,1]
                                        ; implicit-def: $vgpr34_vgpr35
                                        ; implicit-def: $agpr16_agpr17
.LBB0_11:
	s_trap 2
	ds_read_b32 v2, v0
	s_waitcnt lgkmcnt(0)
	v_cmp_gt_i32_e32 vcc, 0, v2
	s_cbranch_vccnz .LBB0_13
; %bb.12:
	s_trap 2
	ds_read_b64 v[12:13], v0
	v_mov_b32_e32 v3, 0
	v_lshlrev_b64 v[2:3], 3, v[2:3]
	v_and_b32_e32 v6, 0xffff, v6
	s_movk_i32 s4, 0xa8
	s_waitcnt lgkmcnt(0)
	v_add_co_u32_e32 v2, vcc, v12, v2
	v_addc_co_u32_e32 v3, vcc, v13, v3, vcc
	flat_load_dwordx2 v[2:3], v[2:3]
	v_cmp_eq_u32_e32 vcc, 0, v5
	s_waitcnt vmcnt(0) lgkmcnt(0)
	v_mad_u64_u32 v[2:3], s[4:5], v6, s4, v[2:3]
	flat_load_dwordx2 a[18:19], v[2:3]
	flat_load_dwordx2 v[16:17], v[2:3] offset:104
	v_cndmask_b32_e32 v19, 0, v3, vcc
	v_cndmask_b32_e32 v18, 0, v2, vcc
	s_branch .LBB0_14
.LBB0_13:
                                        ; implicit-def: $vgpr16_vgpr17
                                        ; implicit-def: $agpr18_agpr19
.LBB0_14:
	v_subrev_u32_e32 v2, 64, v20
	v_pk_mov_b32 v[12:13], 0, 0
	v_cmp_le_i32_e32 vcc, v2, v44
	v_cmp_gt_i32_e64 s[4:5], s6, v5
	v_accvgpr_write_b32 a21, v13
	s_and_b64 s[22:23], vcc, s[4:5]
	v_accvgpr_write_b32 a20, v12
                                        ; implicit-def: $vgpr38_vgpr39
	s_and_saveexec_b64 s[4:5], s[22:23]
	s_cbranch_execz .LBB0_16
; %bb.15:
	flat_load_dwordx2 a[20:21], v[26:27] offset:56
	flat_load_dwordx2 v[38:39], v[26:27] offset:104
.LBB0_16:
	s_or_b64 exec, exec, s[4:5]
	v_cmp_gt_i32_e64 s[4:5], s6, v44
	v_pk_mov_b32 v[50:51], v[12:13], v[12:13] op_sel:[0,1]
                                        ; implicit-def: $vgpr52_vgpr53
	s_and_saveexec_b64 s[6:7], s[4:5]
	s_cbranch_execz .LBB0_18
; %bb.17:
	flat_load_dwordx2 v[50:51], v[18:19] offset:56
	s_waitcnt vmcnt(0) lgkmcnt(0)
	flat_load_dwordx2 v[52:53], v[50:51] glc
	s_waitcnt vmcnt(0)
	flat_load_dwordx4 v[12:15], v[18:19] offset:96
.LBB0_18:
	s_or_b64 exec, exec, s[6:7]
	v_cmp_ne_u64_e32 vcc, 0, v[24:25]
	v_pk_mov_b32 v[42:43], 0, 0
	s_and_saveexec_b64 s[24:25], vcc
	s_cbranch_execz .LBB0_596
; %bb.19:
	v_add_co_u32_e32 v0, vcc, v0, v22
	s_ashr_i32 s6, s8, 31
	v_addc_co_u32_e32 v1, vcc, v1, v23, vcc
	s_lshr_b32 s6, s6, 29
	v_add_co_u32_e32 v0, vcc, v0, v8
	s_ashr_i32 s21, s20, 31
	s_add_i32 s8, s8, s6
	v_accvgpr_write_b32 a22, v0
	v_addc_co_u32_e32 v0, vcc, v1, v4, vcc
	s_lshl_b64 s[6:7], s[20:21], 2
	v_accvgpr_read_b32 v2, a4
	v_accvgpr_write_b32 a23, v0
	v_mov_b32_e32 v0, s7
	v_accvgpr_read_b32 v3, a5
	v_add_co_u32_e32 v1, vcc, s6, v2
	v_addc_co_u32_e32 v0, vcc, v3, v0, vcc
	v_add_co_u32_e32 v2, vcc, -4, v1
	v_addc_co_u32_e32 v3, vcc, -1, v0, vcc
	v_and_b32_e32 v0, 63, v31
	v_ashrrev_i32_e32 v21, 31, v20
	v_cmp_eq_u32_e64 s[12:13], 0, v0
	v_lshrrev_b32_e32 v0, 26, v21
	v_add_u32_e32 v0, v20, v0
	v_ashrrev_i32_e32 v0, 6, v0
	v_accvgpr_write_b32 a25, v3
	v_ashrrev_i32_e32 v1, 31, v0
	v_accvgpr_write_b32 a24, v2
	v_accvgpr_write_b32 a26, v0
	;; [unrolled: 1-line block ×3, first 2 shown]
	v_accvgpr_read_b32 v0, a8
	v_lshlrev_b32_e32 v4, 3, v44
	v_accvgpr_read_b32 v2, a10
	v_ashrrev_i32_e32 v5, 31, v4
	v_accvgpr_read_b32 v3, a11
	v_add_co_u32_e32 v6, vcc, v2, v4
	v_addc_co_u32_e32 v7, vcc, v3, v5, vcc
	v_accvgpr_read_b32 v1, a9
	v_add_co_u32_e32 v0, vcc, v0, v4
	v_accvgpr_write_b32 a32, v0
	v_addc_co_u32_e32 v0, vcc, v1, v5, vcc
	v_accvgpr_write_b32 a33, v0
	v_accvgpr_read_b32 v0, a6
	v_accvgpr_read_b32 v1, a7
	v_add_co_u32_e32 v0, vcc, v6, v0
	s_waitcnt vmcnt(0) lgkmcnt(0)
	v_accvgpr_read_b32 v2, a20
	v_addc_co_u32_e32 v1, vcc, v7, v1, vcc
	v_accvgpr_read_b32 v3, a21
	v_accvgpr_write_b32 a35, v1
	s_ashr_i32 s10, s8, 3
	v_cmp_ne_u64_e64 s[14:15], 0, v[2:3]
	v_accvgpr_write_b32 a34, v0
	v_lshlrev_b64 v[0:1], 4, v[44:45]
	v_accvgpr_read_b32 v2, a18
	v_and_b32_e32 v36, 0x1fffff0, v10
	v_mov_b32_e32 v41, 0
	s_ashr_i32 s58, s8, 7
	s_and_b32 s21, s10, -16
	v_accvgpr_read_b32 v3, a19
	v_add_co_u32_e32 v0, vcc, v2, v0
	v_accvgpr_write_b32 a14, v26
	v_accvgpr_write_b32 a12, v18
	v_mov_b32_e32 v37, v41
	v_lshlrev_b32_e32 v56, 3, v20
	s_cmp_gt_i32 s20, 2
	v_accvgpr_write_b32 a37, v0
	v_addc_co_u32_e32 v0, vcc, v3, v1, vcc
	v_pk_mov_b32 v[54:55], 0, 0
	v_accvgpr_write_b32 a2, v24
	v_accvgpr_write_b32 a8, v36
	;; [unrolled: 1-line block ×4, first 2 shown]
	s_mov_b64 s[26:27], 0
	v_cmp_ne_u64_e64 s[6:7], 0, v[50:51]
	v_cmp_ne_u64_e64 s[8:9], 0, v[12:13]
	v_cmp_ne_u32_e64 s[10:11], 64, v20
	v_accvgpr_write_b32 a1, v9
	v_cmp_ne_u32_sdwa s[28:29], v9, v20 src0_sel:WORD_0 src1_sel:DWORD
	v_accvgpr_write_b32 a0, v31
	s_cselect_b64 s[30:31], -1, 0
	v_accvgpr_write_b32 a28, v4
	v_accvgpr_write_b32 a29, v5
	;; [unrolled: 1-line block ×4, first 2 shown]
	v_lshlrev_b32_e32 v29, 6, v20
	v_accvgpr_write_b32 a38, v0
	s_movk_i32 s59, 0x2710
	s_mov_b64 s[34:35], 0x7ffffff8
	s_movk_i32 s60, 0xff
	s_movk_i32 s61, 0x80
	;; [unrolled: 1-line block ×3, first 2 shown]
	s_mov_b64 s[36:37], 0x7f800000
	s_mov_b64 s[38:39], 0x43e00001
	s_movk_i32 s63, 0x7a
	s_mov_b64 s[40:41], 0xffffff
	s_mov_b32 s64, 0xffffff
	s_mov_b32 s65, 0xc0c0500
	;; [unrolled: 1-line block ×5, first 2 shown]
	v_bfrev_b32_e32 v46, 60
	v_mov_b32_e32 v47, 0xffffff82
	v_mov_b32_e32 v30, 0x78
	v_mov_b32_e32 v6, 24
	v_mov_b32_e32 v7, 0
	v_ashrrev_i32_e32 v45, 31, v56
	v_lshlrev_b64 v[58:59], 4, v[20:21]
	v_pk_mov_b32 v[42:43], v[54:55], v[54:55] op_sel:[0,1]
	v_accvgpr_write_b32 a3, v25
	v_accvgpr_write_b32 a9, v37
	s_branch .LBB0_21
.LBB0_20:                               ;   in Loop: Header=BB0_21 Depth=1
	s_or_b64 exec, exec, s[16:17]
	v_add_co_u32_e32 v34, vcc, 1, v34
	v_addc_co_u32_e32 v35, vcc, 0, v35, vcc
	v_add_co_u32_e32 v54, vcc, v54, v36
	v_addc_co_u32_e32 v55, vcc, 0, v55, vcc
	v_cmp_ge_u64_e32 vcc, v[54:55], v[24:25]
	v_accvgpr_read_b32 v0, a34
	s_or_b64 s[26:27], vcc, s[26:27]
	v_accvgpr_read_b32 v1, a35
	v_add_co_u32_e32 v0, vcc, v0, v36
	v_addc_co_u32_e32 v1, vcc, 0, v1, vcc
	v_accvgpr_write_b32 a35, v1
	v_accvgpr_write_b32 a34, v0
	s_andn2_b64 exec, exec, s[26:27]
	s_cbranch_execz .LBB0_595
.LBB0_21:                               ; =>This Loop Header: Depth=1
                                        ;     Child Loop BB0_28 Depth 2
                                        ;     Child Loop BB0_45 Depth 2
                                        ;     Child Loop BB0_59 Depth 2
                                        ;     Child Loop BB0_66 Depth 2
                                        ;     Child Loop BB0_70 Depth 2
                                        ;       Child Loop BB0_85 Depth 3
                                        ;       Child Loop BB0_101 Depth 3
	;; [unrolled: 1-line block ×3, first 2 shown]
                                        ;         Child Loop BB0_122 Depth 4
                                        ;       Child Loop BB0_330 Depth 3
                                        ;       Child Loop BB0_78 Depth 3
                                        ;     Child Loop BB0_347 Depth 2
                                        ;       Child Loop BB0_355 Depth 3
                                        ;     Child Loop BB0_582 Depth 2
	v_accvgpr_read_b32 v0, a24
	v_accvgpr_read_b32 v1, a25
	s_waitcnt vmcnt(0) lgkmcnt(0)
	flat_load_dword v2, v[0:1]
	v_sub_co_u32_e32 v0, vcc, v24, v54
	v_subb_co_u32_e32 v1, vcc, v25, v55, vcc
	v_cmp_lt_u64_e32 vcc, v[36:37], v[0:1]
	v_cndmask_b32_e32 v3, v0, v36, vcc
	v_lshl_add_u32 v0, v3, 1, 14
	v_and_b32_e32 v0, 0x7fffff0, v0
	v_accvgpr_write_b32 a39, v0
	s_and_saveexec_b64 s[16:17], s[6:7]
	s_cbranch_execz .LBB0_37
; %bb.22:                               ;   in Loop: Header=BB0_21 Depth=1
	v_add_co_u32_e32 v0, vcc, 1, v14
	v_addc_co_u32_e32 v1, vcc, 0, v15, vcc
	v_add_co_u32_e32 v4, vcc, 8, v52
	v_addc_co_u32_e32 v5, vcc, 0, v53, vcc
	v_cmp_lt_u64_e32 vcc, v[4:5], v[0:1]
	s_and_saveexec_b64 s[18:19], vcc
	s_cbranch_execz .LBB0_34
; %bb.23:                               ;   in Loop: Header=BB0_21 Depth=1
	s_sleep 1
	flat_load_dwordx2 v[52:53], v[50:51] glc
	v_cmp_eq_u32_e32 vcc, 0, v7
	s_and_saveexec_b64 s[42:43], vcc
	s_cbranch_execz .LBB0_33
; %bb.24:                               ;   in Loop: Header=BB0_21 Depth=1
	v_cndmask_b32_e64 v4, 0, 1, vcc
	s_mov_b64 s[44:45], 0
                                        ; implicit-def: $sgpr46_sgpr47
	s_branch .LBB0_28
.LBB0_25:                               ;   in Loop: Header=BB0_28 Depth=2
	s_or_b64 exec, exec, s[54:55]
	s_orn2_b64 s[52:53], s[52:53], exec
.LBB0_26:                               ;   in Loop: Header=BB0_28 Depth=2
	s_or_b64 exec, exec, s[50:51]
	s_xor_b64 vcc, s[52:53], -1
	s_andn2_b64 s[46:47], s[46:47], exec
	s_and_b64 vcc, vcc, exec
	s_or_b64 s[46:47], s[46:47], vcc
.LBB0_27:                               ;   in Loop: Header=BB0_28 Depth=2
	s_or_b64 exec, exec, s[48:49]
	s_and_b64 vcc, exec, s[46:47]
	s_or_b64 s[44:45], vcc, s[44:45]
	s_andn2_b64 exec, exec, s[44:45]
	s_cbranch_execz .LBB0_32
.LBB0_28:                               ;   Parent Loop BB0_21 Depth=1
                                        ; =>  This Inner Loop Header: Depth=2
	s_waitcnt vmcnt(0) lgkmcnt(0)
	v_add_co_u32_e32 v8, vcc, 8, v52
	v_addc_co_u32_e32 v9, vcc, 0, v53, vcc
	v_cmp_lt_u64_e32 vcc, v[8:9], v[0:1]
	v_mov_b32_e32 v7, 0
	s_or_b64 s[46:47], s[46:47], exec
	s_and_saveexec_b64 s[48:49], vcc
	s_cbranch_execz .LBB0_27
; %bb.29:                               ;   in Loop: Header=BB0_28 Depth=2
	s_sleep 1
	flat_load_dwordx2 v[52:53], v[50:51] glc
	v_add_u32_e32 v4, 1, v4
	v_cmp_eq_u32_e32 vcc, s59, v4
	s_mov_b64 s[52:53], -1
	v_mov_b32_e32 v7, 0
	s_and_saveexec_b64 s[50:51], vcc
	s_cbranch_execz .LBB0_26
; %bb.30:                               ;   in Loop: Header=BB0_28 Depth=2
	s_trap 2
	ds_read_b64 v[4:5], v0
	v_mov_b32_e32 v7, 0
	s_waitcnt vmcnt(0) lgkmcnt(0)
	flat_load_dword v5, v[4:5] glc
	s_waitcnt vmcnt(0) lgkmcnt(0)
	buffer_invl2
	buffer_wbinvl1_vol
	v_mov_b32_e32 v4, 0
	v_cmp_ne_u32_e32 vcc, 0, v5
	s_and_saveexec_b64 s[54:55], vcc
	s_cbranch_execz .LBB0_25
; %bb.31:                               ;   in Loop: Header=BB0_28 Depth=2
	v_mov_b32_e32 v7, 1
	s_xor_b64 s[52:53], exec, -1
	ds_write_b32 v0, v5
	s_trap 2
	s_branch .LBB0_25
.LBB0_32:                               ;   in Loop: Header=BB0_21 Depth=1
	s_or_b64 exec, exec, s[44:45]
.LBB0_33:                               ;   in Loop: Header=BB0_21 Depth=1
	s_or_b64 exec, exec, s[42:43]
.LBB0_34:                               ;   in Loop: Header=BB0_21 Depth=1
	s_or_b64 exec, exec, s[18:19]
	s_and_saveexec_b64 s[18:19], s[8:9]
	s_cbranch_execz .LBB0_36
; %bb.35:                               ;   in Loop: Header=BB0_21 Depth=1
	v_and_b32_e32 v40, 0x7ffffff8, v14
	v_mov_b32_e32 v4, s21
	v_cmp_eq_u64_e32 vcc, s[34:35], v[40:41]
	v_accvgpr_read_b32 v5, a39
	v_cndmask_b32_e32 v4, v5, v4, vcc
	v_and_b32_e32 v8, 7, v14
	v_ashrrev_i32_e32 v5, 31, v4
	v_mad_u64_u32 v[8:9], vcc, v8, 24, v[12:13]
	flat_store_dwordx2 v[8:9], v[4:5] offset:8
	s_waitcnt vmcnt(0)
.LBB0_36:                               ;   in Loop: Header=BB0_21 Depth=1
	s_or_b64 exec, exec, s[18:19]
	v_pk_mov_b32 v[14:15], v[0:1], v[0:1] op_sel:[0,1]
.LBB0_37:                               ;   in Loop: Header=BB0_21 Depth=1
	s_or_b64 exec, exec, s[16:17]
	s_and_saveexec_b64 s[16:17], s[10:11]
	s_cbranch_execz .LBB0_56
; %bb.38:                               ;   in Loop: Header=BB0_21 Depth=1
	s_and_saveexec_b64 s[18:19], s[28:29]
	s_xor_b64 s[18:19], exec, s[18:19]
	s_cbranch_execz .LBB0_53
; %bb.39:                               ;   in Loop: Header=BB0_21 Depth=1
	s_and_saveexec_b64 s[42:43], s[12:13]
	s_cbranch_execz .LBB0_52
; %bb.40:                               ;   in Loop: Header=BB0_21 Depth=1
	s_mov_b64 s[46:47], exec
	v_mbcnt_lo_u32_b32 v0, s46, 0
	v_mbcnt_hi_u32_b32 v0, s47, v0
	v_cmp_eq_u32_e32 vcc, 0, v0
	s_waitcnt vmcnt(0) lgkmcnt(0)
	buffer_wbinvl1_vol
	s_and_saveexec_b64 s[44:45], vcc
	s_cbranch_execz .LBB0_42
; %bb.41:                               ;   in Loop: Header=BB0_21 Depth=1
	s_bcnt1_i32_b64 vcc_lo, s[46:47]
	v_mov_b32_e32 v40, vcc_lo
	ds_add_u64 v0, v[40:41]
	s_trap 2
.LBB0_42:                               ;   in Loop: Header=BB0_21 Depth=1
	s_or_b64 exec, exec, s[44:45]
	s_trap 2
	ds_read_b64 v[0:1], v0
	v_accvgpr_read_b32 v4, a26
	v_add_co_u32_e32 v42, vcc, v42, v4
	v_accvgpr_read_b32 v5, a27
	v_addc_co_u32_e32 v43, vcc, v43, v5, vcc
	s_waitcnt lgkmcnt(0)
	v_cmp_lt_u64_e32 vcc, v[0:1], v[42:43]
	s_and_saveexec_b64 s[44:45], vcc
	s_cbranch_execz .LBB0_51
; %bb.43:                               ;   in Loop: Header=BB0_21 Depth=1
	s_mov_b32 s56, 0
	s_mov_b64 s[46:47], 0
                                        ; implicit-def: $sgpr48_sgpr49
                                        ; implicit-def: $sgpr50_sgpr51
	s_branch .LBB0_45
.LBB0_44:                               ;   in Loop: Header=BB0_45 Depth=2
	s_or_b64 exec, exec, s[54:55]
	s_and_b64 vcc, exec, vcc
	s_or_b64 s[46:47], vcc, s[46:47]
	s_andn2_b64 vcc, s[48:49], exec
	s_and_b64 s[48:49], s[50:51], exec
	s_or_b64 s[48:49], vcc, s[48:49]
	s_andn2_b64 exec, exec, s[46:47]
	s_cbranch_execz .LBB0_49
.LBB0_45:                               ;   Parent Loop BB0_21 Depth=1
                                        ; =>  This Inner Loop Header: Depth=2
	s_add_i32 s56, s56, 1
	s_cmpk_lg_i32 s56, 0x2710
	s_cselect_b64 s[52:53], -1, 0
	s_and_b64 vcc, exec, s[52:53]
                                        ; implicit-def: $sgpr54_sgpr55
	s_cbranch_vccnz .LBB0_47
; %bb.46:                               ;   in Loop: Header=BB0_45 Depth=2
	s_trap 2
	ds_read_b64 v[0:1], v0
	s_andn2_b64 s[52:53], s[52:53], exec
	s_mov_b32 s56, 0
	s_mov_b64 s[54:55], -1
	s_waitcnt lgkmcnt(0)
	flat_load_dword v0, v[0:1] glc
	s_waitcnt vmcnt(0) lgkmcnt(0)
	buffer_invl2
	buffer_wbinvl1_vol
	v_cmp_eq_u32_e32 vcc, 0, v0
	s_and_b64 vcc, vcc, exec
	s_or_b64 s[52:53], s[52:53], vcc
.LBB0_47:                               ;   in Loop: Header=BB0_45 Depth=2
	s_andn2_b64 s[50:51], s[50:51], exec
	s_and_b64 s[54:55], s[54:55], exec
	s_mov_b64 vcc, -1
	s_or_b64 s[50:51], s[50:51], s[54:55]
	s_and_saveexec_b64 s[54:55], s[52:53]
	s_cbranch_execz .LBB0_44
; %bb.48:                               ;   in Loop: Header=BB0_45 Depth=2
	s_sleep 1
	s_trap 2
	ds_read_b64 v[0:1], v0
	s_andn2_b64 s[50:51], s[50:51], exec
	s_waitcnt lgkmcnt(0)
	v_cmp_ge_u64_e32 vcc, v[0:1], v[42:43]
	s_orn2_b64 vcc, vcc, exec
	s_branch .LBB0_44
.LBB0_49:                               ;   in Loop: Header=BB0_21 Depth=1
	s_or_b64 exec, exec, s[46:47]
	s_and_saveexec_b64 vcc, s[48:49]
	s_xor_b64 vcc, exec, vcc
	s_cbranch_execz .LBB0_51
; %bb.50:                               ;   in Loop: Header=BB0_21 Depth=1
	v_mov_b32_e32 v0, 1
	ds_write_b32 v0, v0
	s_trap 2
.LBB0_51:                               ;   in Loop: Header=BB0_21 Depth=1
	s_or_b64 exec, exec, s[44:45]
	;;#ASMSTART
	s_wakeup
	;;#ASMEND
.LBB0_52:                               ;   in Loop: Header=BB0_21 Depth=1
	s_or_b64 exec, exec, s[42:43]
.LBB0_53:                               ;   in Loop: Header=BB0_21 Depth=1
	s_andn2_saveexec_b64 s[18:19], s[18:19]
	s_cbranch_execz .LBB0_55
; %bb.54:                               ;   in Loop: Header=BB0_21 Depth=1
	s_waitcnt vmcnt(0) lgkmcnt(0)
	buffer_wbinvl1_vol
	s_barrier
.LBB0_55:                               ;   in Loop: Header=BB0_21 Depth=1
	s_or_b64 exec, exec, s[18:19]
.LBB0_56:                               ;   in Loop: Header=BB0_21 Depth=1
	s_or_b64 exec, exec, s[16:17]
	v_accvgpr_read_b32 v0, a28
	v_sub_u32_e32 v21, v3, v0
	v_cmp_lt_i32_e64 s[16:17], 0, v21
	v_and_b32_e32 v1, 7, v16
	v_mov_b32_e32 v0, v44
	s_and_saveexec_b64 s[18:19], s[16:17]
	s_cbranch_execz .LBB0_64
; %bb.57:                               ;   in Loop: Header=BB0_21 Depth=1
	v_accvgpr_read_b32 v22, a34
	s_waitcnt vmcnt(0) lgkmcnt(0)
	v_ashrrev_i32_e32 v0, 31, v2
	v_mov_b32_e32 v3, v16
	v_add_co_u32_e64 v8, vcc, 0, 0
	v_accvgpr_read_b32 v18, a22
	v_accvgpr_read_b32 v23, a35
	;; [unrolled: 1-line block ×3, first 2 shown]
	v_mul_lo_u32 v4, v1, s58
	v_addc_co_u32_e32 v3, vcc, 1, v3, vcc
	v_mad_u64_u32 v[10:11], vcc, v18, v2, v[22:23]
	v_mul_lo_u32 v9, v9, v2
	v_mul_lo_u32 v0, v18, v0
	v_ashrrev_i32_e32 v5, 31, v4
	v_add3_u32 v11, v9, v11, v0
	v_mul_lo_u32 v0, v18, v2
	v_add_lshl_u32 v9, v22, v0, 3
	v_lshlrev_b64 v[4:5], 4, v[4:5]
	v_accvgpr_read_b32 v0, a37
	v_add_co_u32_e32 v18, vcc, v0, v4
	v_accvgpr_read_b32 v0, a38
	v_addc_co_u32_e32 v19, vcc, v0, v5, vcc
	s_mov_b64 s[42:43], 0
	v_mov_b32_e32 v26, v21
	v_mov_b32_e32 v0, v44
	s_branch .LBB0_59
.LBB0_58:                               ;   in Loop: Header=BB0_59 Depth=2
	s_or_b64 exec, exec, s[44:45]
	v_add_co_u32_e32 v10, vcc, v10, v56
	s_waitcnt vmcnt(0)
	v_alignbit_b32 v2, v28, v2, v9
	v_alignbit_b32 v4, v27, v28, v9
	v_sub_u32_e32 v26, v26, v56
	v_addc_co_u32_e32 v11, vcc, v11, v45, vcc
	v_or_b32_e32 v2, v8, v2
	v_or_b32_e32 v4, v8, v4
	v_mov_b32_e32 v5, v3
	v_cmp_gt_i32_e32 vcc, 1, v26
	global_store_dwordx4 v[18:19], v[2:5], off
	s_or_b64 s[42:43], vcc, s[42:43]
	v_add_co_u32_e32 v18, vcc, v18, v58
	v_add_u32_e32 v0, v0, v20
	v_add_u32_e32 v9, v9, v29
	v_addc_co_u32_e32 v19, vcc, v19, v59, vcc
	s_andn2_b64 exec, exec, s[42:43]
	s_cbranch_execz .LBB0_63
.LBB0_59:                               ;   Parent Loop BB0_21 Depth=1
                                        ; =>  This Inner Loop Header: Depth=2
	v_and_b32_e32 v4, -4, v10
	v_mov_b32_e32 v5, v11
	global_load_dword v2, v[4:5], off glc slc
	v_min_u32_e32 v22, 8, v26
	v_and_b32_e32 v23, 3, v10
	v_add_co_u32_e32 v24, vcc, v23, v22
	v_addc_co_u32_e64 v25, vcc, 0, 0, vcc
	v_mov_b32_e32 v27, 0
	v_cmp_lt_u64_e32 vcc, 4, v[24:25]
	v_mov_b32_e32 v28, 0
	s_and_saveexec_b64 s[44:45], vcc
	s_cbranch_execz .LBB0_61
; %bb.60:                               ;   in Loop: Header=BB0_59 Depth=2
	global_load_dword v28, v[4:5], off offset:4 glc slc
.LBB0_61:                               ;   in Loop: Header=BB0_59 Depth=2
	s_or_b64 exec, exec, s[44:45]
	v_cmp_lt_u64_e32 vcc, 8, v[24:25]
	s_and_saveexec_b64 s[44:45], vcc
	s_cbranch_execz .LBB0_58
; %bb.62:                               ;   in Loop: Header=BB0_59 Depth=2
	global_load_dword v27, v[4:5], off offset:8 glc slc
	s_branch .LBB0_58
.LBB0_63:                               ;   in Loop: Header=BB0_21 Depth=1
	s_or_b64 exec, exec, s[42:43]
.LBB0_64:                               ;   in Loop: Header=BB0_21 Depth=1
	s_or_b64 exec, exec, s[18:19]
	v_and_b32_e32 v40, 0x7ffffff8, v16
	v_cmp_eq_u64_e32 vcc, s[34:35], v[40:41]
	v_cmp_gt_i32_e64 s[18:19], s58, v0
	s_and_b64 s[18:19], vcc, s[18:19]
	s_and_saveexec_b64 s[42:43], s[18:19]
	s_cbranch_execz .LBB0_67
; %bb.65:                               ;   in Loop: Header=BB0_21 Depth=1
	v_mul_lo_u32 v4, v1, s58
	v_mov_b32_e32 v1, v16
	s_waitcnt vmcnt(0) lgkmcnt(0)
	v_add_co_u32_e64 v2, vcc, 0, 0
	v_ashrrev_i32_e32 v5, 31, v4
	v_addc_co_u32_e32 v3, vcc, 1, v1, vcc
	v_ashrrev_i32_e32 v1, 31, v0
	v_lshlrev_b64 v[8:9], 4, v[0:1]
	v_lshlrev_b64 v[4:5], 4, v[4:5]
	v_add_co_u32_e32 v1, vcc, v8, v4
	v_addc_co_u32_e32 v4, vcc, v9, v5, vcc
	v_accvgpr_read_b32 v8, a18
	v_accvgpr_read_b32 v9, a19
	v_add_co_u32_e32 v10, vcc, v8, v1
	v_addc_co_u32_e32 v11, vcc, v9, v4, vcc
	s_mov_b64 s[44:45], 0
.LBB0_66:                               ;   Parent Loop BB0_21 Depth=1
                                        ; =>  This Inner Loop Header: Depth=2
	v_mov_b32_e32 v4, v2
	v_mov_b32_e32 v5, v3
	v_add_u32_e32 v0, v0, v20
	global_store_dwordx4 v[10:11], v[2:5], off
	v_cmp_le_i32_e32 vcc, s58, v0
	v_add_co_u32_e64 v10, s[18:19], v10, v58
	s_or_b64 s[44:45], vcc, s[44:45]
	v_addc_co_u32_e64 v11, vcc, v11, v59, s[18:19]
	s_andn2_b64 exec, exec, s[44:45]
	s_cbranch_execnz .LBB0_66
.LBB0_67:                               ;   in Loop: Header=BB0_21 Depth=1
	s_or_b64 exec, exec, s[42:43]
	v_accvgpr_read_b32 v0, a6
	v_accvgpr_read_b32 v1, a7
	s_waitcnt vmcnt(0) lgkmcnt(0)
	v_add_co_u32_e32 v2, vcc, v54, v0
	v_addc_co_u32_e32 v1, vcc, v55, v1, vcc
	v_add_co_u32_e64 v28, s[18:19], 1, v16
	v_accvgpr_write_b32 a40, v54
	v_accvgpr_write_b32 a36, v29
	s_andn2_b64 vcc, exec, s[30:31]
	v_addc_co_u32_e64 v29, s[18:19], 0, v17, s[18:19]
	v_accvgpr_write_b32 a41, v55
	s_cbranch_vccnz .LBB0_341
; %bb.68:                               ;   in Loop: Header=BB0_21 Depth=1
	v_accvgpr_read_b32 v0, a30
	v_accvgpr_write_b32 a42, v2
	v_add_co_u32_e32 v2, vcc, v0, v2
	v_accvgpr_read_b32 v0, a31
	v_addc_co_u32_e32 v3, vcc, v0, v1, vcc
	v_accvgpr_write_b32 a45, v3
	v_accvgpr_write_b32 a43, v1
	;; [unrolled: 1-line block ×3, first 2 shown]
	v_add_u16_e32 v54, 1, v16
	s_mov_b32 s69, 2
	s_branch .LBB0_70
.LBB0_69:                               ;   in Loop: Header=BB0_70 Depth=2
	s_or_b64 exec, exec, s[42:43]
	v_add_co_u32_e32 v34, vcc, 1, v34
	v_addc_co_u32_e32 v35, vcc, 0, v35, vcc
	s_add_i32 s69, s69, 1
	v_add_co_u32_e32 v28, vcc, 1, v28
	v_addc_co_u32_e32 v29, vcc, 0, v29, vcc
	s_cmp_eq_u32 s69, s20
	v_add_u16_e32 v54, 1, v54
	s_cbranch_scc1 .LBB0_342
.LBB0_70:                               ;   Parent Loop BB0_21 Depth=1
                                        ; =>  This Loop Header: Depth=2
                                        ;       Child Loop BB0_85 Depth 3
                                        ;       Child Loop BB0_101 Depth 3
	;; [unrolled: 1-line block ×3, first 2 shown]
                                        ;         Child Loop BB0_122 Depth 4
                                        ;       Child Loop BB0_330 Depth 3
                                        ;       Child Loop BB0_78 Depth 3
	s_sub_i32 s18, s20, s69
	s_ashr_i32 s19, s18, 31
	s_lshl_b64 s[18:19], s[18:19], 2
	s_waitcnt vmcnt(0) lgkmcnt(0)
	v_accvgpr_read_b32 v2, a4
	v_mov_b32_e32 v1, s19
	v_accvgpr_read_b32 v3, a5
	v_add_co_u32_e32 v0, vcc, s18, v2
	v_addc_co_u32_e32 v1, vcc, v3, v1, vcc
	flat_load_dword v2, v[0:1]
	s_and_saveexec_b64 s[18:19], s[6:7]
	s_cbranch_execnz .LBB0_79
; %bb.71:                               ;   in Loop: Header=BB0_70 Depth=2
	s_or_b64 exec, exec, s[18:19]
	s_and_saveexec_b64 s[18:19], s[10:11]
	s_cbranch_execnz .LBB0_94
.LBB0_72:                               ;   in Loop: Header=BB0_70 Depth=2
	s_or_b64 exec, exec, s[18:19]
	v_mov_b32_e32 v0, v44
	s_and_saveexec_b64 s[42:43], s[16:17]
	s_cbranch_execnz .LBB0_112
.LBB0_73:                               ;   in Loop: Header=BB0_70 Depth=2
	s_or_b64 exec, exec, s[42:43]
	s_and_saveexec_b64 s[18:19], s[10:11]
	s_cbranch_execnz .LBB0_323
.LBB0_74:                               ;   in Loop: Header=BB0_70 Depth=2
	s_or_b64 exec, exec, s[18:19]
	s_and_saveexec_b64 s[18:19], s[14:15]
	s_cbranch_execz .LBB0_76
.LBB0_75:                               ;   in Loop: Header=BB0_70 Depth=2
	v_add_co_u32_e32 v38, vcc, 1, v38
	s_waitcnt vmcnt(0) lgkmcnt(0)
	v_accvgpr_read_b32 v2, a20
	v_addc_co_u32_e32 v39, vcc, 0, v39, vcc
	v_accvgpr_read_b32 v3, a21
	flat_store_dwordx2 v[2:3], v[38:39]
.LBB0_76:                               ;   in Loop: Header=BB0_70 Depth=2
	s_or_b64 exec, exec, s[18:19]
	v_and_b32_e32 v40, 0x7ffffff8, v28
	v_cmp_eq_u64_e32 vcc, s[34:35], v[40:41]
	v_cmp_gt_i32_e64 s[18:19], s58, v0
	s_and_b64 s[18:19], vcc, s[18:19]
	s_and_saveexec_b64 s[42:43], s[18:19]
	s_cbranch_execz .LBB0_69
; %bb.77:                               ;   in Loop: Header=BB0_70 Depth=2
	v_and_b32_e32 v1, 7, v54
	s_waitcnt vmcnt(0) lgkmcnt(0)
	v_mul_lo_u32 v2, s58, v1
	v_ashrrev_i32_e32 v3, 31, v2
	v_lshlrev_b64 v[4:5], 4, v[2:3]
	v_mov_b32_e32 v1, v28
	v_add_co_u32_e64 v2, vcc, 0, 0
	v_addc_co_u32_e32 v3, vcc, 1, v1, vcc
	v_ashrrev_i32_e32 v1, 31, v0
	v_lshlrev_b64 v[8:9], 4, v[0:1]
	v_add_co_u32_e32 v1, vcc, v8, v4
	v_addc_co_u32_e32 v4, vcc, v9, v5, vcc
	v_accvgpr_read_b32 v8, a18
	v_accvgpr_read_b32 v9, a19
	v_add_co_u32_e32 v10, vcc, v8, v1
	v_addc_co_u32_e32 v11, vcc, v9, v4, vcc
	s_mov_b64 s[44:45], 0
.LBB0_78:                               ;   Parent Loop BB0_21 Depth=1
                                        ;     Parent Loop BB0_70 Depth=2
                                        ; =>    This Inner Loop Header: Depth=3
	v_mov_b32_e32 v4, v2
	v_mov_b32_e32 v5, v3
	v_add_u32_e32 v0, v0, v20
	global_store_dwordx4 v[10:11], v[2:5], off
	v_cmp_le_i32_e32 vcc, s58, v0
	v_add_co_u32_e64 v10, s[18:19], v10, v58
	s_or_b64 s[44:45], vcc, s[44:45]
	v_addc_co_u32_e64 v11, vcc, v11, v59, s[18:19]
	s_andn2_b64 exec, exec, s[44:45]
	s_cbranch_execnz .LBB0_78
	s_branch .LBB0_69
.LBB0_79:                               ;   in Loop: Header=BB0_70 Depth=2
	v_add_co_u32_e32 v0, vcc, 1, v14
	v_addc_co_u32_e32 v1, vcc, 0, v15, vcc
	v_add_co_u32_e32 v4, vcc, 8, v52
	v_addc_co_u32_e32 v5, vcc, 0, v53, vcc
	v_cmp_lt_u64_e32 vcc, v[4:5], v[0:1]
	s_and_saveexec_b64 s[42:43], vcc
	s_cbranch_execz .LBB0_91
; %bb.80:                               ;   in Loop: Header=BB0_70 Depth=2
	s_sleep 1
	flat_load_dwordx2 v[52:53], v[50:51] glc
	v_cmp_eq_u32_e32 vcc, 0, v7
	s_and_saveexec_b64 s[44:45], vcc
	s_cbranch_execz .LBB0_90
; %bb.81:                               ;   in Loop: Header=BB0_70 Depth=2
	v_cndmask_b32_e64 v3, 0, 1, vcc
	s_mov_b64 s[46:47], 0
                                        ; implicit-def: $sgpr48_sgpr49
	s_branch .LBB0_85
.LBB0_82:                               ;   in Loop: Header=BB0_85 Depth=3
	s_or_b64 exec, exec, s[56:57]
	s_orn2_b64 s[54:55], s[54:55], exec
.LBB0_83:                               ;   in Loop: Header=BB0_85 Depth=3
	s_or_b64 exec, exec, s[52:53]
	s_xor_b64 vcc, s[54:55], -1
	s_andn2_b64 s[48:49], s[48:49], exec
	s_and_b64 vcc, vcc, exec
	s_or_b64 s[48:49], s[48:49], vcc
.LBB0_84:                               ;   in Loop: Header=BB0_85 Depth=3
	s_or_b64 exec, exec, s[50:51]
	s_and_b64 vcc, exec, s[48:49]
	s_or_b64 s[46:47], vcc, s[46:47]
	s_andn2_b64 exec, exec, s[46:47]
	s_cbranch_execz .LBB0_89
.LBB0_85:                               ;   Parent Loop BB0_21 Depth=1
                                        ;     Parent Loop BB0_70 Depth=2
                                        ; =>    This Inner Loop Header: Depth=3
	s_waitcnt vmcnt(0) lgkmcnt(0)
	v_add_co_u32_e32 v4, vcc, 8, v52
	v_addc_co_u32_e32 v5, vcc, 0, v53, vcc
	v_cmp_lt_u64_e32 vcc, v[4:5], v[0:1]
	v_mov_b32_e32 v7, 0
	s_or_b64 s[48:49], s[48:49], exec
	s_and_saveexec_b64 s[50:51], vcc
	s_cbranch_execz .LBB0_84
; %bb.86:                               ;   in Loop: Header=BB0_85 Depth=3
	s_sleep 1
	flat_load_dwordx2 v[52:53], v[50:51] glc
	v_add_u32_e32 v3, 1, v3
	v_cmp_eq_u32_e32 vcc, s59, v3
	s_mov_b64 s[54:55], -1
	v_mov_b32_e32 v7, 0
	s_and_saveexec_b64 s[52:53], vcc
	s_cbranch_execz .LBB0_83
; %bb.87:                               ;   in Loop: Header=BB0_85 Depth=3
	s_trap 2
	ds_read_b64 v[4:5], v0
	v_mov_b32_e32 v3, 0
	v_mov_b32_e32 v7, 0
	s_waitcnt vmcnt(0) lgkmcnt(0)
	flat_load_dword v4, v[4:5] glc
	s_waitcnt vmcnt(0) lgkmcnt(0)
	buffer_invl2
	buffer_wbinvl1_vol
	v_cmp_ne_u32_e32 vcc, 0, v4
	s_and_saveexec_b64 s[56:57], vcc
	s_cbranch_execz .LBB0_82
; %bb.88:                               ;   in Loop: Header=BB0_85 Depth=3
	v_mov_b32_e32 v7, 1
	s_xor_b64 s[54:55], exec, -1
	ds_write_b32 v0, v4
	s_trap 2
	s_branch .LBB0_82
.LBB0_89:                               ;   in Loop: Header=BB0_70 Depth=2
	s_or_b64 exec, exec, s[46:47]
.LBB0_90:                               ;   in Loop: Header=BB0_70 Depth=2
	s_or_b64 exec, exec, s[44:45]
.LBB0_91:                               ;   in Loop: Header=BB0_70 Depth=2
	s_or_b64 exec, exec, s[42:43]
	s_and_saveexec_b64 s[42:43], s[8:9]
	s_cbranch_execz .LBB0_93
; %bb.92:                               ;   in Loop: Header=BB0_70 Depth=2
	v_and_b32_e32 v40, 0x7ffffff8, v14
	v_mov_b32_e32 v3, s21
	v_cmp_eq_u64_e32 vcc, s[34:35], v[40:41]
	v_accvgpr_read_b32 v4, a39
	v_cndmask_b32_e32 v4, v4, v3, vcc
	v_and_b32_e32 v3, 7, v14
	v_ashrrev_i32_e32 v5, 31, v4
	v_mad_u64_u32 v[8:9], vcc, v3, 24, v[12:13]
	flat_store_dwordx2 v[8:9], v[4:5] offset:8
	s_waitcnt vmcnt(0)
.LBB0_93:                               ;   in Loop: Header=BB0_70 Depth=2
	s_or_b64 exec, exec, s[42:43]
	v_pk_mov_b32 v[14:15], v[0:1], v[0:1] op_sel:[0,1]
	s_or_b64 exec, exec, s[18:19]
	s_and_saveexec_b64 s[18:19], s[10:11]
	s_cbranch_execz .LBB0_72
.LBB0_94:                               ;   in Loop: Header=BB0_70 Depth=2
	s_and_saveexec_b64 vcc, s[28:29]
	s_xor_b64 s[42:43], exec, vcc
	s_cbranch_execz .LBB0_109
; %bb.95:                               ;   in Loop: Header=BB0_70 Depth=2
	s_and_saveexec_b64 s[44:45], s[12:13]
	s_cbranch_execz .LBB0_108
; %bb.96:                               ;   in Loop: Header=BB0_70 Depth=2
	s_mov_b64 s[48:49], exec
	v_mbcnt_lo_u32_b32 v0, s48, 0
	v_mbcnt_hi_u32_b32 v0, s49, v0
	v_cmp_eq_u32_e32 vcc, 0, v0
	s_waitcnt vmcnt(0) lgkmcnt(0)
	buffer_wbinvl1_vol
	s_and_saveexec_b64 s[46:47], vcc
	s_cbranch_execz .LBB0_98
; %bb.97:                               ;   in Loop: Header=BB0_70 Depth=2
	s_bcnt1_i32_b64 vcc_lo, s[48:49]
	v_mov_b32_e32 v40, vcc_lo
	ds_add_u64 v0, v[40:41]
	s_trap 2
.LBB0_98:                               ;   in Loop: Header=BB0_70 Depth=2
	s_or_b64 exec, exec, s[46:47]
	s_trap 2
	ds_read_b64 v[0:1], v0
	v_accvgpr_read_b32 v4, a26
	v_add_co_u32_e32 v42, vcc, v42, v4
	v_accvgpr_read_b32 v3, a27
	v_addc_co_u32_e32 v43, vcc, v43, v3, vcc
	s_waitcnt lgkmcnt(0)
	v_cmp_lt_u64_e32 vcc, v[0:1], v[42:43]
	s_and_saveexec_b64 s[46:47], vcc
	s_cbranch_execz .LBB0_107
; %bb.99:                               ;   in Loop: Header=BB0_70 Depth=2
	s_mov_b32 s70, 0
	s_mov_b64 s[48:49], 0
                                        ; implicit-def: $sgpr50_sgpr51
                                        ; implicit-def: $sgpr52_sgpr53
	s_branch .LBB0_101
.LBB0_100:                              ;   in Loop: Header=BB0_101 Depth=3
	s_or_b64 exec, exec, s[56:57]
	s_and_b64 vcc, exec, vcc
	s_or_b64 s[48:49], vcc, s[48:49]
	s_andn2_b64 vcc, s[50:51], exec
	s_and_b64 s[50:51], s[52:53], exec
	s_or_b64 s[50:51], vcc, s[50:51]
	s_andn2_b64 exec, exec, s[48:49]
	s_cbranch_execz .LBB0_105
.LBB0_101:                              ;   Parent Loop BB0_21 Depth=1
                                        ;     Parent Loop BB0_70 Depth=2
                                        ; =>    This Inner Loop Header: Depth=3
	s_add_i32 s70, s70, 1
	s_cmpk_lg_i32 s70, 0x2710
	s_cselect_b64 s[54:55], -1, 0
	s_and_b64 vcc, exec, s[54:55]
                                        ; implicit-def: $sgpr56_sgpr57
	s_cbranch_vccnz .LBB0_103
; %bb.102:                              ;   in Loop: Header=BB0_101 Depth=3
	s_trap 2
	ds_read_b64 v[0:1], v0
	s_andn2_b64 s[54:55], s[54:55], exec
	s_mov_b32 s70, 0
	s_mov_b64 s[56:57], -1
	s_waitcnt lgkmcnt(0)
	flat_load_dword v0, v[0:1] glc
	s_waitcnt vmcnt(0) lgkmcnt(0)
	buffer_invl2
	buffer_wbinvl1_vol
	v_cmp_eq_u32_e32 vcc, 0, v0
	s_and_b64 vcc, vcc, exec
	s_or_b64 s[54:55], s[54:55], vcc
.LBB0_103:                              ;   in Loop: Header=BB0_101 Depth=3
	s_andn2_b64 s[52:53], s[52:53], exec
	s_and_b64 s[56:57], s[56:57], exec
	s_mov_b64 vcc, -1
	s_or_b64 s[52:53], s[52:53], s[56:57]
	s_and_saveexec_b64 s[56:57], s[54:55]
	s_cbranch_execz .LBB0_100
; %bb.104:                              ;   in Loop: Header=BB0_101 Depth=3
	s_sleep 1
	s_trap 2
	ds_read_b64 v[0:1], v0
	s_andn2_b64 s[52:53], s[52:53], exec
	s_waitcnt lgkmcnt(0)
	v_cmp_ge_u64_e32 vcc, v[0:1], v[42:43]
	s_orn2_b64 vcc, vcc, exec
	s_branch .LBB0_100
.LBB0_105:                              ;   in Loop: Header=BB0_70 Depth=2
	s_or_b64 exec, exec, s[48:49]
	s_and_saveexec_b64 vcc, s[50:51]
	s_xor_b64 vcc, exec, vcc
	s_cbranch_execz .LBB0_107
; %bb.106:                              ;   in Loop: Header=BB0_70 Depth=2
	v_mov_b32_e32 v0, 1
	ds_write_b32 v0, v0
	s_trap 2
.LBB0_107:                              ;   in Loop: Header=BB0_70 Depth=2
	s_or_b64 exec, exec, s[46:47]
	;;#ASMSTART
	s_wakeup
	;;#ASMEND
.LBB0_108:                              ;   in Loop: Header=BB0_70 Depth=2
	s_or_b64 exec, exec, s[44:45]
.LBB0_109:                              ;   in Loop: Header=BB0_70 Depth=2
	s_andn2_saveexec_b64 vcc, s[42:43]
	s_cbranch_execz .LBB0_111
; %bb.110:                              ;   in Loop: Header=BB0_70 Depth=2
	s_waitcnt vmcnt(0) lgkmcnt(0)
	buffer_wbinvl1_vol
	s_barrier
.LBB0_111:                              ;   in Loop: Header=BB0_70 Depth=2
	s_or_b64 exec, exec, vcc
	s_or_b64 exec, exec, s[18:19]
	v_mov_b32_e32 v0, v44
	s_and_saveexec_b64 s[42:43], s[16:17]
	s_cbranch_execz .LBB0_73
.LBB0_112:                              ;   in Loop: Header=BB0_70 Depth=2
	v_accvgpr_read_b32 v4, a44
	s_waitcnt vmcnt(0) lgkmcnt(0)
	v_ashrrev_i32_e32 v0, 31, v2
	v_accvgpr_read_b32 v3, a22
	v_accvgpr_read_b32 v5, a45
	;; [unrolled: 1-line block ×3, first 2 shown]
	v_mad_u64_u32 v[10:11], s[18:19], v3, v2, v[4:5]
	v_mul_lo_u32 v1, v1, v2
	v_mul_lo_u32 v0, v3, v0
	v_add3_u32 v11, v1, v11, v0
	v_and_b32_e32 v0, 7, v34
	v_mul_lo_u32 v0, v0, s58
	v_ashrrev_i32_e32 v1, 31, v0
	v_lshlrev_b64 v[0:1], 4, v[0:1]
	v_accvgpr_read_b32 v2, a16
	v_add_co_u32_e32 v55, vcc, v2, v0
	v_and_b32_e32 v0, 7, v28
	v_accvgpr_read_b32 v3, a17
	v_mul_lo_u32 v0, v0, s58
	v_addc_co_u32_e32 v57, vcc, v3, v1, vcc
	v_ashrrev_i32_e32 v1, 31, v0
	v_lshlrev_b64 v[0:1], 4, v[0:1]
	v_accvgpr_read_b32 v2, a18
	v_accvgpr_read_b32 v3, a19
	v_add_co_u32_e32 v49, vcc, v2, v0
	v_addc_co_u32_e32 v31, vcc, v3, v1, vcc
	v_mov_b32_e32 v1, v28
	v_add_co_u32_e64 v8, vcc, 0, 0
	v_add_u32_e32 v48, 1, v34
	v_addc_co_u32_e32 v3, vcc, 1, v1, vcc
	s_mov_b64 s[44:45], 0
	v_mov_b32_e32 v9, v21
	v_mov_b32_e32 v0, v44
	s_branch .LBB0_114
.LBB0_113:                              ;   in Loop: Header=BB0_114 Depth=3
	s_or_b64 exec, exec, s[18:19]
	v_lshlrev_b32_e32 v17, 8, v32
	v_add_co_u32_e32 v10, vcc, v10, v56
	v_perm_b32 v1, v17, v1, s65
	v_lshlrev_b32_e32 v17, 8, v25
	v_addc_co_u32_e32 v11, vcc, v11, v45, vcc
	v_lshlrev_b32_e32 v18, 24, v16
	v_perm_b32 v16, v17, v19, s65
	v_and_b32_e32 v2, 0xff, v33
	v_lshl_or_b32 v19, v60, 16, v16
	v_add_co_u32_e32 v16, vcc, v49, v4
	v_lshlrev_b32_e32 v2, 16, v2
	v_addc_co_u32_e32 v17, vcc, v31, v5, vcc
	v_sub_u32_e32 v9, v9, v56
	v_lshl_or_b32 v2, v24, 24, v2
	v_cmp_gt_i32_e32 vcc, 1, v9
	v_or3_b32 v2, v2, v1, v8
	v_or3_b32 v4, v18, v19, v8
	v_mov_b32_e32 v5, v3
	s_or_b64 s[44:45], vcc, s[44:45]
	v_add_u32_e32 v0, v0, v20
	global_store_dwordx4 v[16:17], v[2:5], off
	s_andn2_b64 exec, exec, s[44:45]
	s_cbranch_execz .LBB0_322
.LBB0_114:                              ;   Parent Loop BB0_21 Depth=1
                                        ;     Parent Loop BB0_70 Depth=2
                                        ; =>    This Loop Header: Depth=3
                                        ;         Child Loop BB0_122 Depth 4
	v_and_b32_e32 v4, -4, v10
	v_mov_b32_e32 v5, v11
	global_load_dword v2, v[4:5], off glc slc
	v_min_u32_e32 v1, 8, v9
	v_and_b32_e32 v16, 3, v10
	v_add_co_u32_e32 v16, vcc, v16, v1
	v_addc_co_u32_e64 v17, s[18:19], 0, 0, vcc
	v_mov_b32_e32 v60, 0
	v_cmp_lt_u64_e32 vcc, 4, v[16:17]
	v_mov_b32_e32 v61, 0
	s_and_saveexec_b64 s[18:19], vcc
	s_cbranch_execz .LBB0_116
; %bb.115:                              ;   in Loop: Header=BB0_114 Depth=3
	global_load_dword v61, v[4:5], off offset:4 glc slc
.LBB0_116:                              ;   in Loop: Header=BB0_114 Depth=3
	s_or_b64 exec, exec, s[18:19]
	v_cmp_lt_u64_e32 vcc, 8, v[16:17]
	s_and_saveexec_b64 s[18:19], vcc
	s_cbranch_execz .LBB0_118
; %bb.117:                              ;   in Loop: Header=BB0_114 Depth=3
	global_load_dword v60, v[4:5], off offset:8 glc slc
.LBB0_118:                              ;   in Loop: Header=BB0_114 Depth=3
	s_or_b64 exec, exec, s[18:19]
	v_ashrrev_i32_e32 v1, 31, v0
	v_lshlrev_b64 v[4:5], 4, v[0:1]
	v_add_co_u32_e32 v24, vcc, v55, v4
	v_addc_co_u32_e32 v25, vcc, v57, v5, vcc
	global_load_dwordx4 v[16:19], v[24:25], off glc slc
	v_cmp_eq_u32_e32 vcc, 0, v7
	s_and_saveexec_b64 s[46:47], vcc
	s_cbranch_execz .LBB0_130
; %bb.119:                              ;   in Loop: Header=BB0_114 Depth=3
	s_waitcnt vmcnt(0)
	v_cmp_ne_u32_e32 vcc, v48, v17
	v_cmp_ne_u32_e64 s[18:19], v48, v19
	s_or_b64 s[18:19], vcc, s[18:19]
	v_mov_b32_e32 v7, 0
	s_and_saveexec_b64 s[48:49], s[18:19]
	s_cbranch_execz .LBB0_129
; %bb.120:                              ;   in Loop: Header=BB0_114 Depth=3
	s_mov_b32 s54, 1
	s_mov_b64 s[50:51], 0
	v_mov_b32_e32 v7, 0
	s_branch .LBB0_122
.LBB0_121:                              ;   in Loop: Header=BB0_122 Depth=4
	s_or_b64 exec, exec, s[52:53]
	s_and_b64 s[18:19], exec, s[18:19]
	s_or_b64 s[50:51], s[18:19], s[50:51]
	s_andn2_b64 exec, exec, s[50:51]
	s_cbranch_execz .LBB0_128
.LBB0_122:                              ;   Parent Loop BB0_21 Depth=1
                                        ;     Parent Loop BB0_70 Depth=2
                                        ;       Parent Loop BB0_114 Depth=3
                                        ; =>      This Inner Loop Header: Depth=4
	global_load_dwordx4 v[16:19], v[24:25], off glc slc
	s_add_i32 s54, s54, 1
	s_cmpk_lg_i32 s54, 0x2710
	s_cbranch_scc1 .LBB0_126
; %bb.123:                              ;   in Loop: Header=BB0_122 Depth=4
	s_trap 2
	ds_read_b64 v[26:27], v0
	s_waitcnt vmcnt(0) lgkmcnt(0)
	flat_load_dword v1, v[26:27] glc
	s_waitcnt vmcnt(0) lgkmcnt(0)
	buffer_invl2
	buffer_wbinvl1_vol
	v_cmp_ne_u32_e32 vcc, 0, v1
	s_and_saveexec_b64 s[18:19], vcc
	s_cbranch_execz .LBB0_125
; %bb.124:                              ;   in Loop: Header=BB0_122 Depth=4
	v_mov_b32_e32 v7, 1
	ds_write_b32 v0, v1
	s_trap 2
.LBB0_125:                              ;   in Loop: Header=BB0_122 Depth=4
	s_or_b64 exec, exec, s[18:19]
	s_mov_b32 s54, 0
	v_mov_b32_e32 v1, v7
	v_cmp_eq_u32_e32 vcc, 0, v1
	s_mov_b64 s[18:19], -1
	s_and_saveexec_b64 s[52:53], vcc
	s_cbranch_execz .LBB0_121
	s_branch .LBB0_127
.LBB0_126:                              ;   in Loop: Header=BB0_122 Depth=4
	v_mov_b32_e32 v1, 0
	v_cmp_eq_u32_e32 vcc, 0, v1
	s_mov_b64 s[18:19], -1
	s_and_saveexec_b64 s[52:53], vcc
	s_cbranch_execz .LBB0_121
.LBB0_127:                              ;   in Loop: Header=BB0_122 Depth=4
	s_waitcnt vmcnt(0)
	v_cmp_eq_u32_e32 vcc, v48, v17
	v_cmp_eq_u32_e64 s[18:19], v48, v19
	s_and_b64 s[18:19], vcc, s[18:19]
	s_orn2_b64 s[18:19], s[18:19], exec
	s_branch .LBB0_121
.LBB0_128:                              ;   in Loop: Header=BB0_114 Depth=3
	s_or_b64 exec, exec, s[50:51]
.LBB0_129:                              ;   in Loop: Header=BB0_114 Depth=3
	s_or_b64 exec, exec, s[48:49]
.LBB0_130:                              ;   in Loop: Header=BB0_114 Depth=3
	s_or_b64 exec, exec, s[46:47]
	s_waitcnt vmcnt(0)
	v_cmp_ne_u16_sdwa vcc, v16, v41 src0_sel:BYTE_0 src1_sel:DWORD
	v_mov_b32_e32 v1, 0
	v_mov_b32_e32 v24, 0
	s_and_saveexec_b64 s[18:19], vcc
	s_cbranch_execz .LBB0_136
; %bb.131:                              ;   in Loop: Header=BB0_114 Depth=3
	v_cmp_ne_u16_sdwa vcc, v16, s61 src0_sel:BYTE_0 src1_sel:DWORD
	v_bfrev_b32_e32 v24, 1
	s_and_saveexec_b64 s[46:47], vcc
	s_cbranch_execz .LBB0_135
; %bb.132:                              ;   in Loop: Header=BB0_114 Depth=3
	v_and_b32_e32 v25, 0x7f, v16
	v_cmp_ne_u32_e32 vcc, s62, v25
	v_mov_b32_e32 v24, 0x7f800001
	s_and_saveexec_b64 s[48:49], vcc
	s_cbranch_execz .LBB0_134
; %bb.133:                              ;   in Loop: Header=BB0_114 Depth=3
	v_and_b32_e32 v22, 7, v16
	v_ffbh_u32_e32 v22, v22
	v_min_u32_e32 v22, 32, v22
	v_lshrrev_b32_e32 v23, 3, v25
	v_subrev_u32_e32 v24, 28, v22
	v_sub_u32_e32 v22, 29, v22
	v_cmp_gt_u32_e32 vcc, 8, v25
	v_cndmask_b32_e32 v22, v23, v22, vcc
	v_cndmask_b32_e32 v23, 0, v24, vcc
	v_lshlrev_b64 v[24:25], v23, v[16:17]
	v_lshlrev_b32_e32 v17, 20, v24
	v_lshlrev_b32_e32 v23, 24, v16
	v_and_b32_e32 v17, 0x700000, v17
	v_and_b32_e32 v23, 0x80000000, v23
	v_lshl_add_u32 v22, v22, 23, v46
	v_or3_b32 v24, v23, v22, v17
.LBB0_134:                              ;   in Loop: Header=BB0_114 Depth=3
	s_or_b64 exec, exec, s[48:49]
.LBB0_135:                              ;   in Loop: Header=BB0_114 Depth=3
	s_or_b64 exec, exec, s[46:47]
.LBB0_136:                              ;   in Loop: Header=BB0_114 Depth=3
	s_or_b64 exec, exec, s[18:19]
	v_lshlrev_b32_e32 v62, 3, v10
	v_alignbit_b32 v40, v61, v2, v62
	v_cmp_ne_u16_sdwa vcc, v40, v41 src0_sel:BYTE_0 src1_sel:DWORD
	s_and_saveexec_b64 s[18:19], vcc
	s_cbranch_execz .LBB0_142
; %bb.137:                              ;   in Loop: Header=BB0_114 Depth=3
	v_cmp_ne_u16_sdwa vcc, v40, s61 src0_sel:BYTE_0 src1_sel:DWORD
	v_bfrev_b32_e32 v1, 1
	s_and_saveexec_b64 s[46:47], vcc
	s_cbranch_execz .LBB0_141
; %bb.138:                              ;   in Loop: Header=BB0_114 Depth=3
	v_and_b32_e32 v2, 0x7f, v40
	v_cmp_ne_u32_e32 vcc, s62, v2
	v_mov_b32_e32 v1, 0x7f800001
	s_and_saveexec_b64 s[48:49], vcc
	s_cbranch_execz .LBB0_140
; %bb.139:                              ;   in Loop: Header=BB0_114 Depth=3
	v_and_b32_e32 v1, 7, v40
	v_ffbh_u32_e32 v1, v1
	v_min_u32_e32 v1, 32, v1
	v_subrev_u32_e32 v22, 28, v1
	v_cmp_gt_u32_e32 vcc, 8, v2
	v_lshrrev_b32_e32 v17, 3, v2
	v_cndmask_b32_e32 v2, 0, v22, vcc
	v_sub_u32_e32 v1, 29, v1
	v_lshlrev_b64 v[26:27], v2, v[40:41]
	v_cndmask_b32_e32 v1, v17, v1, vcc
	v_lshlrev_b32_e32 v2, 20, v26
	v_lshlrev_b32_e32 v17, 24, v40
	v_and_b32_e32 v2, 0x700000, v2
	v_and_b32_e32 v17, 0x80000000, v17
	v_lshl_add_u32 v1, v1, 23, v46
	v_or3_b32 v1, v17, v1, v2
.LBB0_140:                              ;   in Loop: Header=BB0_114 Depth=3
	s_or_b64 exec, exec, s[48:49]
.LBB0_141:                              ;   in Loop: Header=BB0_114 Depth=3
	s_or_b64 exec, exec, s[46:47]
.LBB0_142:                              ;   in Loop: Header=BB0_114 Depth=3
	s_or_b64 exec, exec, s[18:19]
	v_mul_f32_e32 v17, v24, v1
	v_and_b32_sdwa v2, v17, s61 dst_sel:DWORD dst_unused:UNUSED_PAD src0_sel:BYTE_3 src1_sel:DWORD
	v_and_b32_e32 v26, 0x7f800000, v17
	v_mov_b32_e32 v27, v41
	v_and_b32_e32 v24, 0x7fffff, v17
	v_mov_b32_e32 v25, v41
	v_or_b32_e32 v1, 0x7e, v2
	v_cmp_ne_u64_e32 vcc, s[36:37], v[26:27]
	s_and_saveexec_b64 s[18:19], vcc
	s_xor_b64 s[46:47], exec, s[18:19]
	s_cbranch_execz .LBB0_152
; %bb.143:                              ;   in Loop: Header=BB0_114 Depth=3
	v_and_b32_e32 v26, 0x7fffffff, v17
	v_mov_b32_e32 v27, v41
	v_cmp_gt_u64_e32 vcc, s[38:39], v[26:27]
	s_and_saveexec_b64 s[48:49], vcc
	s_cbranch_execz .LBB0_151
; %bb.144:                              ;   in Loop: Header=BB0_114 Depth=3
	v_cmp_ne_u32_e32 vcc, 0, v17
	v_mov_b32_e32 v1, 0
	s_and_saveexec_b64 s[50:51], vcc
	s_cbranch_execz .LBB0_150
; %bb.145:                              ;   in Loop: Header=BB0_114 Depth=3
	v_bfe_u32 v1, v17, 23, 8
	v_sub_u32_e32 v22, 0x79, v1
	v_cmp_gt_u32_e32 vcc, s63, v1
	v_add_u32_e32 v17, 0xffffff81, v1
	v_cndmask_b32_e32 v22, 0, v22, vcc
	v_cmp_eq_u32_e32 vcc, 0, v1
	v_cndmask_b32_e32 v1, v17, v47, vcc
	v_cndmask_b32_e32 v17, v22, v30, vcc
	v_add_u32_e32 v22, 20, v17
	v_or_b32_e32 v23, 0x800000, v24
	v_lshlrev_b64 v[26:27], v22, -1
	v_cndmask_b32_e32 v24, v23, v24, vcc
	v_not_b32_e32 v23, v26
	v_not_b32_e32 v22, v27
	v_and_b32_e32 v26, v24, v23
	v_lshrrev_b64 v[24:25], v17, v[24:25]
	v_and_b32_e32 v27, 0, v22
	v_add_u32_e32 v22, 19, v17
	v_lshrrev_b32_e32 v32, 23, v24
	v_lshlrev_b64 v[22:23], v22, 1
	v_add3_u32 v32, v17, v1, v32
	v_bfe_u32 v1, v24, 20, 1
	v_add_u32_e32 v1, -1, v1
	v_cmp_eq_u64_e32 vcc, v[26:27], v[22:23]
	v_cndmask_b32_e32 v1, 0, v1, vcc
	v_add_u32_e32 v1, v1, v24
	v_and_b32_e32 v1, 0xfffff, v1
	v_add_co_u32_e32 v24, vcc, v1, v24
	v_add_u32_e32 v17, 6, v32
	v_addc_co_u32_e32 v25, vcc, 0, v25, vcc
	v_cmp_ne_u32_e32 vcc, 0, v17
                                        ; implicit-def: $vgpr1
	s_and_saveexec_b64 s[18:19], vcc
	s_xor_b64 s[18:19], exec, s[18:19]
; %bb.146:                              ;   in Loop: Header=BB0_114 Depth=3
	v_add_u32_e32 v1, 7, v32
	v_cmp_lt_u64_e32 vcc, s[40:41], v[24:25]
	v_cndmask_b32_e32 v1, v17, v1, vcc
	v_cndmask_b32_e64 v17, 0, 1, vcc
	v_lshrrev_b64 v[24:25], v17, v[24:25]
; %bb.147:                              ;   in Loop: Header=BB0_114 Depth=3
	s_andn2_saveexec_b64 s[18:19], s[18:19]
; %bb.148:                              ;   in Loop: Header=BB0_114 Depth=3
	v_bfe_u32 v1, v24, 23, 1
; %bb.149:                              ;   in Loop: Header=BB0_114 Depth=3
	s_or_b64 exec, exec, s[18:19]
	v_lshrrev_b64 v[22:23], 20, v[24:25]
	v_cmp_gt_i32_e32 vcc, 16, v1
	v_cndmask_b32_e32 v23, 0, v23, vcc
	v_cndmask_b32_e32 v22, 7, v22, vcc
	v_cmp_eq_u32_e32 vcc, 0, v1
	v_min_i32_e32 v1, 15, v1
	v_cmp_eq_u64_e64 s[18:19], 0, v[22:23]
	v_lshlrev_b32_e32 v1, 3, v1
	v_and_or_b32 v1, v22, 7, v1
	s_and_b64 s[18:19], vcc, s[18:19]
	v_cndmask_b32_e64 v1, v1, 0, s[18:19]
	v_or_b32_e32 v1, v1, v2
.LBB0_150:                              ;   in Loop: Header=BB0_114 Depth=3
	s_or_b64 exec, exec, s[50:51]
.LBB0_151:                              ;   in Loop: Header=BB0_114 Depth=3
	s_or_b64 exec, exec, s[48:49]
                                        ; implicit-def: $vgpr17
                                        ; implicit-def: $vgpr24_vgpr25
.LBB0_152:                              ;   in Loop: Header=BB0_114 Depth=3
	s_andn2_saveexec_b64 s[18:19], s[46:47]
; %bb.153:                              ;   in Loop: Header=BB0_114 Depth=3
	v_or_b32_sdwa v2, v17, s62 dst_sel:DWORD dst_unused:UNUSED_PAD src0_sel:BYTE_3 src1_sel:DWORD
	v_cmp_eq_u64_e32 vcc, 0, v[24:25]
	v_cndmask_b32_e32 v1, v2, v1, vcc
; %bb.154:                              ;   in Loop: Header=BB0_114 Depth=3
	s_or_b64 exec, exec, s[18:19]
	v_lshrrev_b16_e32 v2, 8, v16
	v_cmp_ne_u16_e32 vcc, 0, v2
	v_mov_b32_e32 v17, 0
	v_mov_b32_e32 v24, 0
	s_and_saveexec_b64 s[18:19], vcc
	s_cbranch_execz .LBB0_160
; %bb.155:                              ;   in Loop: Header=BB0_114 Depth=3
	v_cmp_ne_u16_e32 vcc, s61, v2
	v_bfrev_b32_e32 v24, 1
	s_and_saveexec_b64 s[46:47], vcc
	s_cbranch_execz .LBB0_159
; %bb.156:                              ;   in Loop: Header=BB0_114 Depth=3
	v_and_b32_e32 v25, 0x7f, v2
	v_cmp_ne_u32_e32 vcc, s62, v25
	v_mov_b32_e32 v24, 0x7f800001
	s_and_saveexec_b64 s[48:49], vcc
	s_cbranch_execz .LBB0_158
; %bb.157:                              ;   in Loop: Header=BB0_114 Depth=3
	v_and_b32_e32 v24, 7, v2
	v_ffbh_u32_e32 v22, v24
	v_min_u32_e32 v27, 32, v22
	v_subrev_u32_e32 v22, 28, v27
	v_lshlrev_b64 v[22:23], v22, v[2:3]
	v_lshrrev_b32_e32 v26, 3, v25
	v_sub_u32_e32 v2, 29, v27
	v_and_b32_e32 v22, 7, v22
	v_cmp_gt_u32_e32 vcc, 8, v25
	v_cndmask_b32_e32 v2, v26, v2, vcc
	v_cndmask_b32_e32 v22, v24, v22, vcc
	v_lshlrev_b32_e32 v23, 16, v16
	v_lshlrev_b32_e32 v22, 20, v22
	v_and_b32_e32 v23, 0x80000000, v23
	v_lshl_add_u32 v2, v2, 23, v46
	v_or3_b32 v24, v23, v2, v22
.LBB0_158:                              ;   in Loop: Header=BB0_114 Depth=3
	s_or_b64 exec, exec, s[48:49]
.LBB0_159:                              ;   in Loop: Header=BB0_114 Depth=3
	s_or_b64 exec, exec, s[46:47]
.LBB0_160:                              ;   in Loop: Header=BB0_114 Depth=3
	s_or_b64 exec, exec, s[18:19]
	v_lshrrev_b16_e32 v2, 8, v40
	v_cmp_ne_u16_e32 vcc, 0, v2
	s_and_saveexec_b64 s[18:19], vcc
	s_cbranch_execz .LBB0_166
; %bb.161:                              ;   in Loop: Header=BB0_114 Depth=3
	v_cmp_ne_u16_e32 vcc, s61, v2
	v_bfrev_b32_e32 v17, 1
	s_and_saveexec_b64 s[46:47], vcc
	s_cbranch_execz .LBB0_165
; %bb.162:                              ;   in Loop: Header=BB0_114 Depth=3
	v_and_b32_e32 v25, 0x7f, v2
	v_cmp_ne_u32_e32 vcc, s62, v25
	v_mov_b32_e32 v17, 0x7f800001
	s_and_saveexec_b64 s[48:49], vcc
	s_cbranch_execz .LBB0_164
; %bb.163:                              ;   in Loop: Header=BB0_114 Depth=3
	v_and_b32_e32 v17, 7, v2
	v_ffbh_u32_e32 v22, v17
	v_min_u32_e32 v27, 32, v22
	v_subrev_u32_e32 v22, 28, v27
	v_lshlrev_b64 v[22:23], v22, v[2:3]
	v_lshrrev_b32_e32 v26, 3, v25
	v_sub_u32_e32 v2, 29, v27
	v_and_b32_e32 v22, 7, v22
	v_cmp_gt_u32_e32 vcc, 8, v25
	v_cndmask_b32_e32 v2, v26, v2, vcc
	v_cndmask_b32_e32 v17, v17, v22, vcc
	v_lshlrev_b32_e32 v22, 16, v40
	v_lshlrev_b32_e32 v17, 20, v17
	v_and_b32_e32 v22, 0x80000000, v22
	v_lshl_add_u32 v2, v2, 23, v46
	v_or3_b32 v17, v22, v2, v17
.LBB0_164:                              ;   in Loop: Header=BB0_114 Depth=3
	s_or_b64 exec, exec, s[48:49]
.LBB0_165:                              ;   in Loop: Header=BB0_114 Depth=3
	s_or_b64 exec, exec, s[46:47]
.LBB0_166:                              ;   in Loop: Header=BB0_114 Depth=3
	s_or_b64 exec, exec, s[18:19]
	v_mul_f32_e32 v17, v24, v17
	v_and_b32_sdwa v2, v17, s61 dst_sel:DWORD dst_unused:UNUSED_PAD src0_sel:BYTE_3 src1_sel:DWORD
	v_and_b32_e32 v22, 0x7f800000, v17
	v_mov_b32_e32 v23, v41
	v_and_b32_e32 v24, 0x7fffff, v17
	v_mov_b32_e32 v25, v41
	v_or_b32_e32 v32, 0x7e, v2
	v_cmp_ne_u64_e32 vcc, s[36:37], v[22:23]
	s_and_saveexec_b64 s[18:19], vcc
	s_xor_b64 s[46:47], exec, s[18:19]
	s_cbranch_execz .LBB0_176
; %bb.167:                              ;   in Loop: Header=BB0_114 Depth=3
	v_and_b32_e32 v22, 0x7fffffff, v17
	v_mov_b32_e32 v23, v41
	v_cmp_gt_u64_e32 vcc, s[38:39], v[22:23]
	s_and_saveexec_b64 s[48:49], vcc
	s_cbranch_execz .LBB0_175
; %bb.168:                              ;   in Loop: Header=BB0_114 Depth=3
	v_cmp_ne_u32_e32 vcc, 0, v17
	v_mov_b32_e32 v32, 0
	s_and_saveexec_b64 s[50:51], vcc
	s_cbranch_execz .LBB0_174
; %bb.169:                              ;   in Loop: Header=BB0_114 Depth=3
	v_bfe_u32 v17, v17, 23, 8
	v_sub_u32_e32 v23, 0x79, v17
	v_cmp_gt_u32_e32 vcc, s63, v17
	v_cndmask_b32_e32 v23, 0, v23, vcc
	v_cmp_eq_u32_e32 vcc, 0, v17
	v_add_u32_e32 v22, 0xffffff81, v17
	v_cndmask_b32_e32 v32, v23, v30, vcc
	v_cndmask_b32_e32 v17, v22, v47, vcc
	v_add_u32_e32 v22, 20, v32
	v_or_b32_e32 v26, 0x800000, v24
	v_lshlrev_b64 v[22:23], v22, -1
	v_cndmask_b32_e32 v24, v26, v24, vcc
	v_not_b32_e32 v22, v22
	v_and_b32_e32 v22, v24, v22
	v_lshrrev_b64 v[24:25], v32, v[24:25]
	v_not_b32_e32 v23, v23
	v_add_u32_e32 v26, 19, v32
	v_lshrrev_b32_e32 v33, 23, v24
	v_and_b32_e32 v23, 0, v23
	v_lshlrev_b64 v[26:27], v26, 1
	v_add3_u32 v33, v32, v17, v33
	v_bfe_u32 v17, v24, 20, 1
	v_add_u32_e32 v17, -1, v17
	v_cmp_eq_u64_e32 vcc, v[22:23], v[26:27]
	v_cndmask_b32_e32 v17, 0, v17, vcc
	v_add_u32_e32 v17, v17, v24
	v_and_b32_e32 v17, 0xfffff, v17
	v_add_co_u32_e32 v24, vcc, v17, v24
	v_add_u32_e32 v32, 6, v33
	v_addc_co_u32_e32 v25, vcc, 0, v25, vcc
	v_cmp_ne_u32_e32 vcc, 0, v32
                                        ; implicit-def: $vgpr17
	s_and_saveexec_b64 s[18:19], vcc
	s_xor_b64 s[18:19], exec, s[18:19]
; %bb.170:                              ;   in Loop: Header=BB0_114 Depth=3
	v_cmp_lt_u64_e32 vcc, s[40:41], v[24:25]
	v_add_u32_e32 v17, 7, v33
	v_cndmask_b32_e64 v22, 0, 1, vcc
	v_cndmask_b32_e32 v17, v32, v17, vcc
	v_lshrrev_b64 v[24:25], v22, v[24:25]
; %bb.171:                              ;   in Loop: Header=BB0_114 Depth=3
	s_andn2_saveexec_b64 s[18:19], s[18:19]
; %bb.172:                              ;   in Loop: Header=BB0_114 Depth=3
	v_bfe_u32 v17, v24, 23, 1
; %bb.173:                              ;   in Loop: Header=BB0_114 Depth=3
	s_or_b64 exec, exec, s[18:19]
	v_lshrrev_b64 v[22:23], 20, v[24:25]
	v_cmp_gt_i32_e32 vcc, 16, v17
	v_cndmask_b32_e32 v23, 0, v23, vcc
	v_cndmask_b32_e32 v22, 7, v22, vcc
	v_cmp_eq_u32_e32 vcc, 0, v17
	v_min_i32_e32 v17, 15, v17
	v_cmp_eq_u64_e64 s[18:19], 0, v[22:23]
	v_lshlrev_b32_e32 v17, 3, v17
	v_and_or_b32 v17, v22, 7, v17
	s_and_b64 s[18:19], vcc, s[18:19]
	v_cndmask_b32_e64 v17, v17, 0, s[18:19]
	v_or_b32_e32 v32, v17, v2
.LBB0_174:                              ;   in Loop: Header=BB0_114 Depth=3
	s_or_b64 exec, exec, s[50:51]
.LBB0_175:                              ;   in Loop: Header=BB0_114 Depth=3
	s_or_b64 exec, exec, s[48:49]
                                        ; implicit-def: $vgpr17
                                        ; implicit-def: $vgpr24_vgpr25
.LBB0_176:                              ;   in Loop: Header=BB0_114 Depth=3
	s_andn2_saveexec_b64 s[18:19], s[46:47]
; %bb.177:                              ;   in Loop: Header=BB0_114 Depth=3
	v_or_b32_sdwa v2, v17, s62 dst_sel:DWORD dst_unused:UNUSED_PAD src0_sel:BYTE_3 src1_sel:DWORD
	v_cmp_eq_u64_e32 vcc, 0, v[24:25]
	v_cndmask_b32_e32 v32, v2, v32, vcc
; %bb.178:                              ;   in Loop: Header=BB0_114 Depth=3
	s_or_b64 exec, exec, s[18:19]
	v_lshrrev_b32_e32 v2, 16, v16
	v_cmp_ne_u16_sdwa vcc, v2, v41 src0_sel:BYTE_0 src1_sel:DWORD
	v_mov_b32_e32 v17, 0
	v_mov_b32_e32 v24, 0
	s_and_saveexec_b64 s[18:19], vcc
	s_cbranch_execz .LBB0_184
; %bb.179:                              ;   in Loop: Header=BB0_114 Depth=3
	v_cmp_ne_u16_sdwa vcc, v2, s61 src0_sel:BYTE_0 src1_sel:DWORD
	v_bfrev_b32_e32 v24, 1
	s_and_saveexec_b64 s[46:47], vcc
	s_cbranch_execz .LBB0_183
; %bb.180:                              ;   in Loop: Header=BB0_114 Depth=3
	v_bfe_u32 v25, v16, 16, 7
	v_cmp_ne_u32_e32 vcc, s62, v25
	v_mov_b32_e32 v24, 0x7f800001
	s_and_saveexec_b64 s[48:49], vcc
	s_cbranch_execz .LBB0_182
; %bb.181:                              ;   in Loop: Header=BB0_114 Depth=3
	v_and_b32_e32 v24, 7, v2
	v_ffbh_u32_e32 v22, v24
	v_min_u32_e32 v27, 32, v22
	v_subrev_u32_e32 v22, 28, v27
	v_lshlrev_b64 v[22:23], v22, v[2:3]
	v_lshrrev_b32_e32 v26, 3, v25
	v_sub_u32_e32 v23, 29, v27
	v_and_b32_e32 v22, 7, v22
	v_cmp_gt_u32_e32 vcc, 8, v25
	v_cndmask_b32_e32 v23, v26, v23, vcc
	v_cndmask_b32_e32 v22, v24, v22, vcc
	v_lshlrev_b32_e32 v2, 24, v2
	v_lshlrev_b32_e32 v22, 20, v22
	v_and_b32_e32 v2, 0x80000000, v2
	v_lshl_add_u32 v23, v23, 23, v46
	v_or3_b32 v24, v2, v23, v22
.LBB0_182:                              ;   in Loop: Header=BB0_114 Depth=3
	s_or_b64 exec, exec, s[48:49]
.LBB0_183:                              ;   in Loop: Header=BB0_114 Depth=3
	s_or_b64 exec, exec, s[46:47]
.LBB0_184:                              ;   in Loop: Header=BB0_114 Depth=3
	s_or_b64 exec, exec, s[18:19]
	v_and_b32_sdwa v25, v40, s60 dst_sel:DWORD dst_unused:UNUSED_PAD src0_sel:WORD_1 src1_sel:DWORD
	v_lshrrev_b32_e32 v2, 16, v40
	v_cmp_ne_u16_e32 vcc, 0, v25
	s_and_saveexec_b64 s[18:19], vcc
	s_cbranch_execz .LBB0_190
; %bb.185:                              ;   in Loop: Header=BB0_114 Depth=3
	v_cmp_ne_u16_e32 vcc, s61, v25
	v_bfrev_b32_e32 v17, 1
	s_and_saveexec_b64 s[46:47], vcc
	s_cbranch_execz .LBB0_189
; %bb.186:                              ;   in Loop: Header=BB0_114 Depth=3
	v_bfe_u32 v25, v40, 16, 7
	v_cmp_ne_u32_e32 vcc, s62, v25
	v_mov_b32_e32 v17, 0x7f800001
	s_and_saveexec_b64 s[48:49], vcc
	s_cbranch_execz .LBB0_188
; %bb.187:                              ;   in Loop: Header=BB0_114 Depth=3
	v_and_b32_e32 v17, 7, v2
	v_ffbh_u32_e32 v22, v17
	v_min_u32_e32 v27, 32, v22
	v_subrev_u32_e32 v22, 28, v27
	v_lshlrev_b64 v[22:23], v22, v[2:3]
	v_lshrrev_b32_e32 v26, 3, v25
	v_sub_u32_e32 v2, 29, v27
	v_and_b32_e32 v22, 7, v22
	v_cmp_gt_u32_e32 vcc, 8, v25
	v_cndmask_b32_e32 v2, v26, v2, vcc
	v_cndmask_b32_e32 v17, v17, v22, vcc
	v_lshlrev_b32_e32 v22, 8, v40
	v_lshlrev_b32_e32 v17, 20, v17
	v_and_b32_e32 v22, 0x80000000, v22
	v_lshl_add_u32 v2, v2, 23, v46
	v_or3_b32 v17, v22, v2, v17
.LBB0_188:                              ;   in Loop: Header=BB0_114 Depth=3
	s_or_b64 exec, exec, s[48:49]
.LBB0_189:                              ;   in Loop: Header=BB0_114 Depth=3
	s_or_b64 exec, exec, s[46:47]
.LBB0_190:                              ;   in Loop: Header=BB0_114 Depth=3
	s_or_b64 exec, exec, s[18:19]
	v_mul_f32_e32 v17, v24, v17
	v_and_b32_sdwa v2, v17, s61 dst_sel:DWORD dst_unused:UNUSED_PAD src0_sel:BYTE_3 src1_sel:DWORD
	v_and_b32_e32 v22, 0x7f800000, v17
	v_mov_b32_e32 v23, v41
	v_and_b32_e32 v24, 0x7fffff, v17
	v_mov_b32_e32 v25, v41
	v_or_b32_e32 v33, 0x7e, v2
	v_cmp_ne_u64_e32 vcc, s[36:37], v[22:23]
	s_and_saveexec_b64 s[18:19], vcc
	s_xor_b64 s[46:47], exec, s[18:19]
	s_cbranch_execz .LBB0_200
; %bb.191:                              ;   in Loop: Header=BB0_114 Depth=3
	v_and_b32_e32 v22, 0x7fffffff, v17
	v_mov_b32_e32 v23, v41
	v_cmp_gt_u64_e32 vcc, s[38:39], v[22:23]
	s_and_saveexec_b64 s[48:49], vcc
	s_cbranch_execz .LBB0_199
; %bb.192:                              ;   in Loop: Header=BB0_114 Depth=3
	v_cmp_ne_u32_e32 vcc, 0, v17
	v_mov_b32_e32 v33, 0
	s_and_saveexec_b64 s[50:51], vcc
	s_cbranch_execz .LBB0_198
; %bb.193:                              ;   in Loop: Header=BB0_114 Depth=3
	v_bfe_u32 v17, v17, 23, 8
	v_sub_u32_e32 v23, 0x79, v17
	v_cmp_gt_u32_e32 vcc, s63, v17
	v_cndmask_b32_e32 v23, 0, v23, vcc
	v_cmp_eq_u32_e32 vcc, 0, v17
	v_add_u32_e32 v22, 0xffffff81, v17
	v_cndmask_b32_e32 v27, v23, v30, vcc
	v_cndmask_b32_e32 v17, v22, v47, vcc
	v_add_u32_e32 v22, 20, v27
	v_or_b32_e32 v26, 0x800000, v24
	v_lshlrev_b64 v[22:23], v22, -1
	v_cndmask_b32_e32 v24, v26, v24, vcc
	v_not_b32_e32 v22, v22
	v_and_b32_e32 v22, v24, v22
	v_add_u32_e32 v26, 19, v27
	v_lshrrev_b64 v[24:25], v27, v[24:25]
	v_not_b32_e32 v23, v23
	v_lshlrev_b64 v[36:37], v26, 1
	v_lshrrev_b32_e32 v26, 23, v24
	v_and_b32_e32 v23, 0, v23
	v_add3_u32 v26, v27, v17, v26
	v_bfe_u32 v17, v24, 20, 1
	v_add_u32_e32 v17, -1, v17
	v_cmp_eq_u64_e32 vcc, v[22:23], v[36:37]
	v_cndmask_b32_e32 v17, 0, v17, vcc
	v_add_u32_e32 v17, v17, v24
	v_and_b32_e32 v17, 0xfffff, v17
	v_add_co_u32_e32 v24, vcc, v17, v24
	v_add_u32_e32 v33, 6, v26
	v_addc_co_u32_e32 v25, vcc, 0, v25, vcc
	v_cmp_ne_u32_e32 vcc, 0, v33
                                        ; implicit-def: $vgpr17
	s_and_saveexec_b64 s[18:19], vcc
	s_xor_b64 s[18:19], exec, s[18:19]
; %bb.194:                              ;   in Loop: Header=BB0_114 Depth=3
	v_cmp_lt_u64_e32 vcc, s[40:41], v[24:25]
	v_add_u32_e32 v17, 7, v26
	v_cndmask_b32_e64 v22, 0, 1, vcc
	v_cndmask_b32_e32 v17, v33, v17, vcc
	v_lshrrev_b64 v[24:25], v22, v[24:25]
; %bb.195:                              ;   in Loop: Header=BB0_114 Depth=3
	s_andn2_saveexec_b64 s[18:19], s[18:19]
; %bb.196:                              ;   in Loop: Header=BB0_114 Depth=3
	v_bfe_u32 v17, v24, 23, 1
; %bb.197:                              ;   in Loop: Header=BB0_114 Depth=3
	s_or_b64 exec, exec, s[18:19]
	v_lshrrev_b64 v[22:23], 20, v[24:25]
	v_cmp_gt_i32_e32 vcc, 16, v17
	v_cndmask_b32_e32 v23, 0, v23, vcc
	v_cndmask_b32_e32 v22, 7, v22, vcc
	v_cmp_eq_u32_e32 vcc, 0, v17
	v_min_i32_e32 v17, 15, v17
	v_cmp_eq_u64_e64 s[18:19], 0, v[22:23]
	v_lshlrev_b32_e32 v17, 3, v17
	v_and_or_b32 v17, v22, 7, v17
	s_and_b64 s[18:19], vcc, s[18:19]
	v_cndmask_b32_e64 v17, v17, 0, s[18:19]
	v_or_b32_e32 v33, v17, v2
.LBB0_198:                              ;   in Loop: Header=BB0_114 Depth=3
	s_or_b64 exec, exec, s[50:51]
.LBB0_199:                              ;   in Loop: Header=BB0_114 Depth=3
	s_or_b64 exec, exec, s[48:49]
                                        ; implicit-def: $vgpr17
                                        ; implicit-def: $vgpr24_vgpr25
.LBB0_200:                              ;   in Loop: Header=BB0_114 Depth=3
	s_andn2_saveexec_b64 s[18:19], s[46:47]
; %bb.201:                              ;   in Loop: Header=BB0_114 Depth=3
	v_or_b32_sdwa v2, v17, s62 dst_sel:DWORD dst_unused:UNUSED_PAD src0_sel:BYTE_3 src1_sel:DWORD
	v_cmp_eq_u64_e32 vcc, 0, v[24:25]
	v_cndmask_b32_e32 v33, v2, v33, vcc
; %bb.202:                              ;   in Loop: Header=BB0_114 Depth=3
	s_or_b64 exec, exec, s[18:19]
	v_cmp_lt_u32_e32 vcc, s64, v16
	v_mov_b32_e32 v17, 0
	v_mov_b32_e32 v24, 0
	s_and_saveexec_b64 s[18:19], vcc
	s_cbranch_execz .LBB0_208
; %bb.203:                              ;   in Loop: Header=BB0_114 Depth=3
	v_lshrrev_b32_e32 v2, 24, v16
	v_cmp_ne_u32_e32 vcc, s61, v2
	v_bfrev_b32_e32 v24, 1
	s_and_saveexec_b64 s[46:47], vcc
	s_cbranch_execz .LBB0_207
; %bb.204:                              ;   in Loop: Header=BB0_114 Depth=3
	v_bfe_u32 v16, v16, 24, 7
	v_cmp_ne_u32_e32 vcc, s62, v16
	v_mov_b32_e32 v24, 0x7f800001
	s_and_saveexec_b64 s[48:49], vcc
	s_cbranch_execz .LBB0_206
; %bb.205:                              ;   in Loop: Header=BB0_114 Depth=3
	v_and_b32_e32 v24, 7, v2
	v_ffbh_u32_e32 v22, v24
	v_min_u32_e32 v26, 32, v22
	v_subrev_u32_e32 v22, 28, v26
	v_lshlrev_b64 v[22:23], v22, v[2:3]
	v_lshrrev_b32_e32 v25, 3, v16
	v_sub_u32_e32 v23, 29, v26
	v_and_b32_e32 v22, 7, v22
	v_cmp_gt_u32_e32 vcc, 8, v16
	v_cndmask_b32_e32 v16, v25, v23, vcc
	v_cndmask_b32_e32 v22, v24, v22, vcc
	v_lshlrev_b32_e32 v2, 24, v2
	v_lshlrev_b32_e32 v22, 20, v22
	v_and_b32_e32 v2, 0x80000000, v2
	v_lshl_add_u32 v16, v16, 23, v46
	v_or3_b32 v24, v2, v16, v22
.LBB0_206:                              ;   in Loop: Header=BB0_114 Depth=3
	s_or_b64 exec, exec, s[48:49]
.LBB0_207:                              ;   in Loop: Header=BB0_114 Depth=3
	s_or_b64 exec, exec, s[46:47]
.LBB0_208:                              ;   in Loop: Header=BB0_114 Depth=3
	s_or_b64 exec, exec, s[18:19]
	v_cmp_lt_u32_e32 vcc, s64, v40
	s_and_saveexec_b64 s[18:19], vcc
	s_cbranch_execz .LBB0_214
; %bb.209:                              ;   in Loop: Header=BB0_114 Depth=3
	v_lshrrev_b32_e32 v2, 24, v40
	v_cmp_ne_u32_sdwa vcc, v40, s61 src0_sel:BYTE_3 src1_sel:DWORD
	v_bfrev_b32_e32 v17, 1
	s_and_saveexec_b64 s[46:47], vcc
	s_cbranch_execz .LBB0_213
; %bb.210:                              ;   in Loop: Header=BB0_114 Depth=3
	v_bfe_u32 v16, v40, 24, 7
	v_cmp_ne_u32_e32 vcc, s62, v16
	v_mov_b32_e32 v17, 0x7f800001
	s_and_saveexec_b64 s[48:49], vcc
	s_cbranch_execz .LBB0_212
; %bb.211:                              ;   in Loop: Header=BB0_114 Depth=3
	v_and_b32_e32 v17, 7, v2
	v_ffbh_u32_e32 v22, v17
	v_min_u32_e32 v26, 32, v22
	v_subrev_u32_e32 v22, 28, v26
	v_lshlrev_b64 v[22:23], v22, v[2:3]
	v_lshrrev_b32_e32 v25, 3, v16
	v_sub_u32_e32 v2, 29, v26
	v_and_b32_e32 v22, 7, v22
	v_cmp_gt_u32_e32 vcc, 8, v16
	v_cndmask_b32_e32 v2, v25, v2, vcc
	v_cndmask_b32_e32 v16, v17, v22, vcc
	v_lshlrev_b32_sdwa v17, v6, v40 dst_sel:DWORD dst_unused:UNUSED_PAD src0_sel:DWORD src1_sel:BYTE_3
	v_lshlrev_b32_e32 v16, 20, v16
	v_and_b32_e32 v17, 0x80000000, v17
	v_lshl_add_u32 v2, v2, 23, v46
	v_or3_b32 v17, v17, v2, v16
.LBB0_212:                              ;   in Loop: Header=BB0_114 Depth=3
	s_or_b64 exec, exec, s[48:49]
.LBB0_213:                              ;   in Loop: Header=BB0_114 Depth=3
	s_or_b64 exec, exec, s[46:47]
.LBB0_214:                              ;   in Loop: Header=BB0_114 Depth=3
	s_or_b64 exec, exec, s[18:19]
	v_mul_f32_e32 v16, v24, v17
	v_and_b32_sdwa v2, v16, s61 dst_sel:DWORD dst_unused:UNUSED_PAD src0_sel:BYTE_3 src1_sel:DWORD
	v_and_b32_e32 v22, 0x7f800000, v16
	v_mov_b32_e32 v23, v41
	v_and_b32_e32 v40, 0x7fffff, v16
	v_or_b32_e32 v24, 0x7e, v2
	v_cmp_ne_u64_e32 vcc, s[36:37], v[22:23]
	s_and_saveexec_b64 s[18:19], vcc
	s_xor_b64 s[46:47], exec, s[18:19]
	s_cbranch_execz .LBB0_224
; %bb.215:                              ;   in Loop: Header=BB0_114 Depth=3
	v_and_b32_e32 v22, 0x7fffffff, v16
	v_mov_b32_e32 v23, v41
	v_cmp_gt_u64_e32 vcc, s[38:39], v[22:23]
	s_and_saveexec_b64 s[48:49], vcc
	s_cbranch_execz .LBB0_223
; %bb.216:                              ;   in Loop: Header=BB0_114 Depth=3
	v_cmp_ne_u32_e32 vcc, 0, v16
	v_mov_b32_e32 v24, 0
	s_and_saveexec_b64 s[50:51], vcc
	s_cbranch_execz .LBB0_222
; %bb.217:                              ;   in Loop: Header=BB0_114 Depth=3
	v_bfe_u32 v16, v16, 23, 8
	v_sub_u32_e32 v22, 0x79, v16
	v_cmp_gt_u32_e32 vcc, s63, v16
	v_cndmask_b32_e32 v22, 0, v22, vcc
	v_cmp_eq_u32_e32 vcc, 0, v16
	v_or_b32_e32 v23, 0x800000, v40
	v_cndmask_b32_e32 v25, v22, v30, vcc
	v_add_u32_e32 v17, 0xffffff81, v16
	v_cndmask_b32_e32 v40, v23, v40, vcc
	v_add_u32_e32 v16, 20, v25
	v_cndmask_b32_e32 v24, v17, v47, vcc
	v_lshlrev_b64 v[16:17], v16, -1
	v_lshrrev_b64 v[36:37], v25, v[40:41]
	v_not_b32_e32 v17, v17
	v_not_b32_e32 v16, v16
	v_add_u32_e32 v22, 19, v25
	v_lshrrev_b32_e32 v26, 23, v36
	v_and_b32_e32 v17, 0, v17
	v_and_b32_e32 v16, v40, v16
	v_lshlrev_b64 v[22:23], v22, 1
	v_add3_u32 v26, v25, v24, v26
	v_bfe_u32 v24, v36, 20, 1
	v_add_u32_e32 v24, -1, v24
	v_cmp_eq_u64_e32 vcc, v[16:17], v[22:23]
	v_cndmask_b32_e32 v16, 0, v24, vcc
	v_add_u32_e32 v16, v16, v36
	v_and_b32_e32 v16, 0xfffff, v16
	v_add_co_u32_e32 v16, vcc, v16, v36
	v_add_u32_e32 v25, 6, v26
	v_addc_co_u32_e32 v17, vcc, 0, v37, vcc
	v_cmp_ne_u32_e32 vcc, 0, v25
                                        ; implicit-def: $vgpr24
	s_and_saveexec_b64 s[18:19], vcc
	s_xor_b64 s[18:19], exec, s[18:19]
; %bb.218:                              ;   in Loop: Header=BB0_114 Depth=3
	v_add_u32_e32 v22, 7, v26
	v_cmp_lt_u64_e32 vcc, s[40:41], v[16:17]
	v_cndmask_b32_e32 v24, v25, v22, vcc
	v_cndmask_b32_e64 v22, 0, 1, vcc
	v_lshrrev_b64 v[16:17], v22, v[16:17]
; %bb.219:                              ;   in Loop: Header=BB0_114 Depth=3
	s_andn2_saveexec_b64 s[18:19], s[18:19]
; %bb.220:                              ;   in Loop: Header=BB0_114 Depth=3
	v_bfe_u32 v24, v16, 23, 1
; %bb.221:                              ;   in Loop: Header=BB0_114 Depth=3
	s_or_b64 exec, exec, s[18:19]
	v_lshrrev_b64 v[16:17], 20, v[16:17]
	v_cmp_gt_i32_e32 vcc, 16, v24
	v_cndmask_b32_e32 v17, 0, v17, vcc
	v_cndmask_b32_e32 v16, 7, v16, vcc
	v_cmp_eq_u64_e64 s[18:19], 0, v[16:17]
	v_min_i32_e32 v17, 15, v24
	v_cmp_eq_u32_e32 vcc, 0, v24
	v_lshlrev_b32_e32 v17, 3, v17
	v_and_or_b32 v16, v16, 7, v17
	s_and_b64 s[18:19], vcc, s[18:19]
	v_cndmask_b32_e64 v16, v16, 0, s[18:19]
	v_or_b32_e32 v24, v16, v2
.LBB0_222:                              ;   in Loop: Header=BB0_114 Depth=3
	s_or_b64 exec, exec, s[50:51]
.LBB0_223:                              ;   in Loop: Header=BB0_114 Depth=3
	s_or_b64 exec, exec, s[48:49]
                                        ; implicit-def: $vgpr16
.LBB0_224:                              ;   in Loop: Header=BB0_114 Depth=3
	s_andn2_saveexec_b64 s[18:19], s[46:47]
; %bb.225:                              ;   in Loop: Header=BB0_114 Depth=3
	v_or_b32_sdwa v2, v16, s62 dst_sel:DWORD dst_unused:UNUSED_PAD src0_sel:BYTE_3 src1_sel:DWORD
	v_cmp_eq_u64_e32 vcc, 0, v[40:41]
	v_cndmask_b32_e32 v24, v2, v24, vcc
; %bb.226:                              ;   in Loop: Header=BB0_114 Depth=3
	s_or_b64 exec, exec, s[18:19]
	v_cmp_ne_u16_sdwa vcc, v18, v41 src0_sel:BYTE_0 src1_sel:DWORD
	v_mov_b32_e32 v2, 0
	v_mov_b32_e32 v16, 0
	s_and_saveexec_b64 s[18:19], vcc
	s_cbranch_execz .LBB0_232
; %bb.227:                              ;   in Loop: Header=BB0_114 Depth=3
	v_cmp_ne_u16_sdwa vcc, v18, s61 src0_sel:BYTE_0 src1_sel:DWORD
	v_bfrev_b32_e32 v16, 1
	s_and_saveexec_b64 s[46:47], vcc
	s_cbranch_execz .LBB0_231
; %bb.228:                              ;   in Loop: Header=BB0_114 Depth=3
	v_and_b32_e32 v17, 0x7f, v18
	v_cmp_ne_u32_e32 vcc, s62, v17
	v_mov_b32_e32 v16, 0x7f800001
	s_and_saveexec_b64 s[48:49], vcc
	s_cbranch_execz .LBB0_230
; %bb.229:                              ;   in Loop: Header=BB0_114 Depth=3
	v_and_b32_e32 v16, 7, v18
	v_ffbh_u32_e32 v16, v16
	v_min_u32_e32 v16, 32, v16
	v_lshrrev_b32_e32 v22, 3, v17
	v_subrev_u32_e32 v23, 28, v16
	v_sub_u32_e32 v16, 29, v16
	v_cmp_gt_u32_e32 vcc, 8, v17
	v_cndmask_b32_e32 v22, v22, v16, vcc
	v_cndmask_b32_e32 v16, 0, v23, vcc
	v_lshlrev_b64 v[16:17], v16, v[18:19]
	v_lshlrev_b32_e32 v16, 20, v16
	v_lshlrev_b32_e32 v17, 24, v18
	v_and_b32_e32 v16, 0x700000, v16
	v_and_b32_e32 v17, 0x80000000, v17
	v_lshl_add_u32 v19, v22, 23, v46
	v_or3_b32 v16, v17, v19, v16
.LBB0_230:                              ;   in Loop: Header=BB0_114 Depth=3
	s_or_b64 exec, exec, s[48:49]
.LBB0_231:                              ;   in Loop: Header=BB0_114 Depth=3
	s_or_b64 exec, exec, s[46:47]
.LBB0_232:                              ;   in Loop: Header=BB0_114 Depth=3
	s_or_b64 exec, exec, s[18:19]
	v_alignbit_b32 v40, v60, v61, v62
	v_cmp_ne_u16_sdwa vcc, v40, v41 src0_sel:BYTE_0 src1_sel:DWORD
	s_and_saveexec_b64 s[18:19], vcc
	s_cbranch_execz .LBB0_238
; %bb.233:                              ;   in Loop: Header=BB0_114 Depth=3
	v_cmp_ne_u16_sdwa vcc, v40, s61 src0_sel:BYTE_0 src1_sel:DWORD
	v_bfrev_b32_e32 v2, 1
	s_and_saveexec_b64 s[46:47], vcc
	s_cbranch_execz .LBB0_237
; %bb.234:                              ;   in Loop: Header=BB0_114 Depth=3
	v_and_b32_e32 v17, 0x7f, v40
	v_cmp_ne_u32_e32 vcc, s62, v17
	v_mov_b32_e32 v2, 0x7f800001
	s_and_saveexec_b64 s[48:49], vcc
	s_cbranch_execz .LBB0_236
; %bb.235:                              ;   in Loop: Header=BB0_114 Depth=3
	v_and_b32_e32 v2, 7, v40
	v_ffbh_u32_e32 v2, v2
	v_min_u32_e32 v2, 32, v2
	v_subrev_u32_e32 v22, 28, v2
	v_cmp_gt_u32_e32 vcc, 8, v17
	v_lshrrev_b32_e32 v19, 3, v17
	v_cndmask_b32_e32 v17, 0, v22, vcc
	v_sub_u32_e32 v2, 29, v2
	v_lshlrev_b64 v[22:23], v17, v[40:41]
	v_cndmask_b32_e32 v2, v19, v2, vcc
	v_lshlrev_b32_e32 v17, 20, v22
	v_lshlrev_b32_e32 v19, 24, v40
	v_and_b32_e32 v17, 0x700000, v17
	v_and_b32_e32 v19, 0x80000000, v19
	v_lshl_add_u32 v2, v2, 23, v46
	v_or3_b32 v2, v19, v2, v17
.LBB0_236:                              ;   in Loop: Header=BB0_114 Depth=3
	s_or_b64 exec, exec, s[48:49]
.LBB0_237:                              ;   in Loop: Header=BB0_114 Depth=3
	s_or_b64 exec, exec, s[46:47]
.LBB0_238:                              ;   in Loop: Header=BB0_114 Depth=3
	s_or_b64 exec, exec, s[18:19]
	v_mul_f32_e32 v25, v16, v2
	v_and_b32_sdwa v2, v25, s61 dst_sel:DWORD dst_unused:UNUSED_PAD src0_sel:BYTE_3 src1_sel:DWORD
	v_and_b32_e32 v22, 0x7f800000, v25
	v_mov_b32_e32 v23, v41
	v_and_b32_e32 v16, 0x7fffff, v25
	v_mov_b32_e32 v17, v41
	v_or_b32_e32 v19, 0x7e, v2
	v_cmp_ne_u64_e32 vcc, s[36:37], v[22:23]
	s_and_saveexec_b64 s[18:19], vcc
	s_xor_b64 s[46:47], exec, s[18:19]
	s_cbranch_execz .LBB0_248
; %bb.239:                              ;   in Loop: Header=BB0_114 Depth=3
	v_and_b32_e32 v22, 0x7fffffff, v25
	v_mov_b32_e32 v23, v41
	v_cmp_gt_u64_e32 vcc, s[38:39], v[22:23]
	s_and_saveexec_b64 s[48:49], vcc
	s_cbranch_execz .LBB0_247
; %bb.240:                              ;   in Loop: Header=BB0_114 Depth=3
	v_cmp_ne_u32_e32 vcc, 0, v25
	v_mov_b32_e32 v19, 0
	s_and_saveexec_b64 s[50:51], vcc
	s_cbranch_execz .LBB0_246
; %bb.241:                              ;   in Loop: Header=BB0_114 Depth=3
	v_bfe_u32 v19, v25, 23, 8
	v_sub_u32_e32 v23, 0x79, v19
	v_cmp_gt_u32_e32 vcc, s63, v19
	v_cndmask_b32_e32 v23, 0, v23, vcc
	v_cmp_eq_u32_e32 vcc, 0, v19
	v_add_u32_e32 v22, 0xffffff81, v19
	v_cndmask_b32_e32 v26, v23, v30, vcc
	v_cndmask_b32_e32 v19, v22, v47, vcc
	v_add_u32_e32 v22, 20, v26
	v_or_b32_e32 v25, 0x800000, v16
	v_lshlrev_b64 v[22:23], v22, -1
	v_cndmask_b32_e32 v16, v25, v16, vcc
	v_not_b32_e32 v22, v22
	v_and_b32_e32 v22, v16, v22
	v_add_u32_e32 v25, 19, v26
	v_lshrrev_b64 v[16:17], v26, v[16:17]
	v_not_b32_e32 v23, v23
	v_lshlrev_b64 v[36:37], v25, 1
	v_lshrrev_b32_e32 v25, 23, v16
	v_and_b32_e32 v23, 0, v23
	v_add3_u32 v26, v26, v19, v25
	v_bfe_u32 v19, v16, 20, 1
	v_add_u32_e32 v19, -1, v19
	v_cmp_eq_u64_e32 vcc, v[22:23], v[36:37]
	v_cndmask_b32_e32 v19, 0, v19, vcc
	v_add_u32_e32 v19, v19, v16
	v_and_b32_e32 v19, 0xfffff, v19
	v_add_co_u32_e32 v16, vcc, v19, v16
	v_add_u32_e32 v25, 6, v26
	v_addc_co_u32_e32 v17, vcc, 0, v17, vcc
	v_cmp_ne_u32_e32 vcc, 0, v25
                                        ; implicit-def: $vgpr19
	s_and_saveexec_b64 s[18:19], vcc
	s_xor_b64 s[18:19], exec, s[18:19]
; %bb.242:                              ;   in Loop: Header=BB0_114 Depth=3
	v_cmp_lt_u64_e32 vcc, s[40:41], v[16:17]
	v_add_u32_e32 v19, 7, v26
	v_cndmask_b32_e64 v22, 0, 1, vcc
	v_cndmask_b32_e32 v19, v25, v19, vcc
	v_lshrrev_b64 v[16:17], v22, v[16:17]
; %bb.243:                              ;   in Loop: Header=BB0_114 Depth=3
	s_andn2_saveexec_b64 s[18:19], s[18:19]
; %bb.244:                              ;   in Loop: Header=BB0_114 Depth=3
	v_bfe_u32 v19, v16, 23, 1
; %bb.245:                              ;   in Loop: Header=BB0_114 Depth=3
	s_or_b64 exec, exec, s[18:19]
	v_lshrrev_b64 v[16:17], 20, v[16:17]
	v_cmp_gt_i32_e32 vcc, 16, v19
	v_cndmask_b32_e32 v17, 0, v17, vcc
	v_cndmask_b32_e32 v16, 7, v16, vcc
	v_cmp_eq_u64_e64 s[18:19], 0, v[16:17]
	v_min_i32_e32 v17, 15, v19
	v_cmp_eq_u32_e32 vcc, 0, v19
	v_lshlrev_b32_e32 v17, 3, v17
	v_and_or_b32 v16, v16, 7, v17
	s_and_b64 s[18:19], vcc, s[18:19]
	v_cndmask_b32_e64 v16, v16, 0, s[18:19]
	v_or_b32_e32 v19, v16, v2
.LBB0_246:                              ;   in Loop: Header=BB0_114 Depth=3
	s_or_b64 exec, exec, s[50:51]
.LBB0_247:                              ;   in Loop: Header=BB0_114 Depth=3
	s_or_b64 exec, exec, s[48:49]
                                        ; implicit-def: $vgpr25
                                        ; implicit-def: $vgpr16_vgpr17
.LBB0_248:                              ;   in Loop: Header=BB0_114 Depth=3
	s_andn2_saveexec_b64 s[18:19], s[46:47]
; %bb.249:                              ;   in Loop: Header=BB0_114 Depth=3
	v_or_b32_sdwa v2, v25, s62 dst_sel:DWORD dst_unused:UNUSED_PAD src0_sel:BYTE_3 src1_sel:DWORD
	v_cmp_eq_u64_e32 vcc, 0, v[16:17]
	v_cndmask_b32_e32 v19, v2, v19, vcc
; %bb.250:                              ;   in Loop: Header=BB0_114 Depth=3
	s_or_b64 exec, exec, s[18:19]
	v_lshrrev_b16_e32 v2, 8, v18
	v_cmp_ne_u16_e32 vcc, 0, v2
	v_mov_b32_e32 v16, 0
	v_mov_b32_e32 v17, 0
	s_and_saveexec_b64 s[18:19], vcc
	s_cbranch_execz .LBB0_256
; %bb.251:                              ;   in Loop: Header=BB0_114 Depth=3
	v_cmp_ne_u16_e32 vcc, s61, v2
	v_bfrev_b32_e32 v17, 1
	s_and_saveexec_b64 s[46:47], vcc
	s_cbranch_execz .LBB0_255
; %bb.252:                              ;   in Loop: Header=BB0_114 Depth=3
	v_and_b32_e32 v25, 0x7f, v2
	v_cmp_ne_u32_e32 vcc, s62, v25
	v_mov_b32_e32 v17, 0x7f800001
	s_and_saveexec_b64 s[48:49], vcc
	s_cbranch_execz .LBB0_254
; %bb.253:                              ;   in Loop: Header=BB0_114 Depth=3
	v_and_b32_e32 v17, 7, v2
	v_ffbh_u32_e32 v22, v17
	v_min_u32_e32 v27, 32, v22
	v_subrev_u32_e32 v22, 28, v27
	v_lshlrev_b64 v[22:23], v22, v[2:3]
	v_lshrrev_b32_e32 v26, 3, v25
	v_sub_u32_e32 v2, 29, v27
	v_and_b32_e32 v22, 7, v22
	v_cmp_gt_u32_e32 vcc, 8, v25
	v_cndmask_b32_e32 v2, v26, v2, vcc
	v_cndmask_b32_e32 v17, v17, v22, vcc
	v_lshlrev_b32_e32 v22, 16, v18
	v_lshlrev_b32_e32 v17, 20, v17
	v_and_b32_e32 v22, 0x80000000, v22
	v_lshl_add_u32 v2, v2, 23, v46
	v_or3_b32 v17, v22, v2, v17
.LBB0_254:                              ;   in Loop: Header=BB0_114 Depth=3
	s_or_b64 exec, exec, s[48:49]
.LBB0_255:                              ;   in Loop: Header=BB0_114 Depth=3
	s_or_b64 exec, exec, s[46:47]
.LBB0_256:                              ;   in Loop: Header=BB0_114 Depth=3
	s_or_b64 exec, exec, s[18:19]
	v_lshrrev_b16_e32 v2, 8, v40
	v_cmp_ne_u16_e32 vcc, 0, v2
	s_and_saveexec_b64 s[18:19], vcc
	s_cbranch_execz .LBB0_262
; %bb.257:                              ;   in Loop: Header=BB0_114 Depth=3
	v_cmp_ne_u16_e32 vcc, s61, v2
	v_bfrev_b32_e32 v16, 1
	s_and_saveexec_b64 s[46:47], vcc
	s_cbranch_execz .LBB0_261
; %bb.258:                              ;   in Loop: Header=BB0_114 Depth=3
	v_and_b32_e32 v25, 0x7f, v2
	v_cmp_ne_u32_e32 vcc, s62, v25
	v_mov_b32_e32 v16, 0x7f800001
	s_and_saveexec_b64 s[48:49], vcc
	s_cbranch_execz .LBB0_260
; %bb.259:                              ;   in Loop: Header=BB0_114 Depth=3
	v_and_b32_e32 v16, 7, v2
	v_ffbh_u32_e32 v22, v16
	v_min_u32_e32 v27, 32, v22
	v_subrev_u32_e32 v22, 28, v27
	v_lshlrev_b64 v[22:23], v22, v[2:3]
	v_lshrrev_b32_e32 v26, 3, v25
	v_sub_u32_e32 v2, 29, v27
	v_and_b32_e32 v22, 7, v22
	v_cmp_gt_u32_e32 vcc, 8, v25
	v_cndmask_b32_e32 v2, v26, v2, vcc
	v_cndmask_b32_e32 v16, v16, v22, vcc
	v_lshlrev_b32_e32 v22, 16, v40
	v_lshlrev_b32_e32 v16, 20, v16
	v_and_b32_e32 v22, 0x80000000, v22
	v_lshl_add_u32 v2, v2, 23, v46
	v_or3_b32 v16, v22, v2, v16
.LBB0_260:                              ;   in Loop: Header=BB0_114 Depth=3
	s_or_b64 exec, exec, s[48:49]
.LBB0_261:                              ;   in Loop: Header=BB0_114 Depth=3
	s_or_b64 exec, exec, s[46:47]
.LBB0_262:                              ;   in Loop: Header=BB0_114 Depth=3
	s_or_b64 exec, exec, s[18:19]
	v_mul_f32_e32 v60, v17, v16
	v_and_b32_sdwa v2, v60, s61 dst_sel:DWORD dst_unused:UNUSED_PAD src0_sel:BYTE_3 src1_sel:DWORD
	v_and_b32_e32 v22, 0x7f800000, v60
	v_mov_b32_e32 v23, v41
	v_and_b32_e32 v16, 0x7fffff, v60
	v_mov_b32_e32 v17, v41
	v_or_b32_e32 v25, 0x7e, v2
	v_cmp_ne_u64_e32 vcc, s[36:37], v[22:23]
	s_and_saveexec_b64 s[18:19], vcc
	s_xor_b64 s[46:47], exec, s[18:19]
	s_cbranch_execz .LBB0_272
; %bb.263:                              ;   in Loop: Header=BB0_114 Depth=3
	v_and_b32_e32 v22, 0x7fffffff, v60
	v_mov_b32_e32 v23, v41
	v_cmp_gt_u64_e32 vcc, s[38:39], v[22:23]
	s_and_saveexec_b64 s[48:49], vcc
	s_cbranch_execz .LBB0_271
; %bb.264:                              ;   in Loop: Header=BB0_114 Depth=3
	v_cmp_ne_u32_e32 vcc, 0, v60
	v_mov_b32_e32 v25, 0
	s_and_saveexec_b64 s[50:51], vcc
	s_cbranch_execz .LBB0_270
; %bb.265:                              ;   in Loop: Header=BB0_114 Depth=3
	v_bfe_u32 v22, v60, 23, 8
	v_sub_u32_e32 v25, 0x79, v22
	v_cmp_gt_u32_e32 vcc, s63, v22
	v_cndmask_b32_e32 v25, 0, v25, vcc
	v_cmp_eq_u32_e32 vcc, 0, v22
	v_cndmask_b32_e32 v25, v25, v30, vcc
	v_add_u32_e32 v23, 0xffffff81, v22
	v_add_u32_e32 v22, 20, v25
	v_or_b32_e32 v26, 0x800000, v16
	v_cndmask_b32_e32 v27, v23, v47, vcc
	v_lshlrev_b64 v[22:23], v22, -1
	v_cndmask_b32_e32 v16, v26, v16, vcc
	v_not_b32_e32 v22, v22
	v_and_b32_e32 v22, v16, v22
	v_add_u32_e32 v26, 19, v25
	v_lshrrev_b64 v[16:17], v25, v[16:17]
	v_not_b32_e32 v23, v23
	v_lshlrev_b64 v[36:37], v26, 1
	v_lshrrev_b32_e32 v26, 23, v16
	v_and_b32_e32 v23, 0, v23
	v_add3_u32 v26, v25, v27, v26
	v_bfe_u32 v25, v16, 20, 1
	v_add_u32_e32 v25, -1, v25
	v_cmp_eq_u64_e32 vcc, v[22:23], v[36:37]
	v_cndmask_b32_e32 v22, 0, v25, vcc
	v_add_u32_e32 v22, v22, v16
	v_and_b32_e32 v22, 0xfffff, v22
	v_add_co_u32_e32 v16, vcc, v22, v16
	v_add_u32_e32 v60, 6, v26
	v_addc_co_u32_e32 v17, vcc, 0, v17, vcc
	v_cmp_ne_u32_e32 vcc, 0, v60
                                        ; implicit-def: $vgpr25
	s_and_saveexec_b64 s[18:19], vcc
	s_xor_b64 s[18:19], exec, s[18:19]
; %bb.266:                              ;   in Loop: Header=BB0_114 Depth=3
	v_add_u32_e32 v22, 7, v26
	v_cmp_lt_u64_e32 vcc, s[40:41], v[16:17]
	v_cndmask_b32_e32 v25, v60, v22, vcc
	v_cndmask_b32_e64 v22, 0, 1, vcc
	v_lshrrev_b64 v[16:17], v22, v[16:17]
; %bb.267:                              ;   in Loop: Header=BB0_114 Depth=3
	s_andn2_saveexec_b64 s[18:19], s[18:19]
; %bb.268:                              ;   in Loop: Header=BB0_114 Depth=3
	v_bfe_u32 v25, v16, 23, 1
; %bb.269:                              ;   in Loop: Header=BB0_114 Depth=3
	s_or_b64 exec, exec, s[18:19]
	v_lshrrev_b64 v[16:17], 20, v[16:17]
	v_cmp_gt_i32_e32 vcc, 16, v25
	v_cndmask_b32_e32 v17, 0, v17, vcc
	v_cndmask_b32_e32 v16, 7, v16, vcc
	v_cmp_eq_u64_e64 s[18:19], 0, v[16:17]
	v_min_i32_e32 v17, 15, v25
	v_cmp_eq_u32_e32 vcc, 0, v25
	v_lshlrev_b32_e32 v17, 3, v17
	v_and_or_b32 v16, v16, 7, v17
	s_and_b64 s[18:19], vcc, s[18:19]
	v_cndmask_b32_e64 v16, v16, 0, s[18:19]
	v_or_b32_e32 v25, v16, v2
.LBB0_270:                              ;   in Loop: Header=BB0_114 Depth=3
	s_or_b64 exec, exec, s[50:51]
.LBB0_271:                              ;   in Loop: Header=BB0_114 Depth=3
	s_or_b64 exec, exec, s[48:49]
                                        ; implicit-def: $vgpr60
                                        ; implicit-def: $vgpr16_vgpr17
.LBB0_272:                              ;   in Loop: Header=BB0_114 Depth=3
	s_andn2_saveexec_b64 s[18:19], s[46:47]
; %bb.273:                              ;   in Loop: Header=BB0_114 Depth=3
	v_or_b32_sdwa v2, v60, s62 dst_sel:DWORD dst_unused:UNUSED_PAD src0_sel:BYTE_3 src1_sel:DWORD
	v_cmp_eq_u64_e32 vcc, 0, v[16:17]
	v_cndmask_b32_e32 v25, v2, v25, vcc
; %bb.274:                              ;   in Loop: Header=BB0_114 Depth=3
	s_or_b64 exec, exec, s[18:19]
	v_lshrrev_b32_e32 v2, 16, v18
	v_cmp_ne_u16_sdwa vcc, v2, v41 src0_sel:BYTE_0 src1_sel:DWORD
	v_mov_b32_e32 v16, 0
	v_mov_b32_e32 v17, 0
	s_and_saveexec_b64 s[18:19], vcc
	s_cbranch_execz .LBB0_280
; %bb.275:                              ;   in Loop: Header=BB0_114 Depth=3
	v_cmp_ne_u16_sdwa vcc, v2, s61 src0_sel:BYTE_0 src1_sel:DWORD
	v_bfrev_b32_e32 v17, 1
	s_and_saveexec_b64 s[46:47], vcc
	s_cbranch_execz .LBB0_279
; %bb.276:                              ;   in Loop: Header=BB0_114 Depth=3
	v_bfe_u32 v26, v18, 16, 7
	v_cmp_ne_u32_e32 vcc, s62, v26
	v_mov_b32_e32 v17, 0x7f800001
	s_and_saveexec_b64 s[48:49], vcc
	s_cbranch_execz .LBB0_278
; %bb.277:                              ;   in Loop: Header=BB0_114 Depth=3
	v_and_b32_e32 v17, 7, v2
	v_ffbh_u32_e32 v22, v17
	v_min_u32_e32 v36, 32, v22
	v_subrev_u32_e32 v22, 28, v36
	v_lshlrev_b64 v[22:23], v22, v[2:3]
	v_lshrrev_b32_e32 v27, 3, v26
	v_sub_u32_e32 v23, 29, v36
	v_and_b32_e32 v22, 7, v22
	v_cmp_gt_u32_e32 vcc, 8, v26
	v_cndmask_b32_e32 v23, v27, v23, vcc
	v_cndmask_b32_e32 v17, v17, v22, vcc
	v_lshlrev_b32_e32 v2, 24, v2
	v_lshlrev_b32_e32 v17, 20, v17
	v_and_b32_e32 v2, 0x80000000, v2
	v_lshl_add_u32 v22, v23, 23, v46
	v_or3_b32 v17, v2, v22, v17
.LBB0_278:                              ;   in Loop: Header=BB0_114 Depth=3
	s_or_b64 exec, exec, s[48:49]
.LBB0_279:                              ;   in Loop: Header=BB0_114 Depth=3
	s_or_b64 exec, exec, s[46:47]
.LBB0_280:                              ;   in Loop: Header=BB0_114 Depth=3
	s_or_b64 exec, exec, s[18:19]
	v_and_b32_sdwa v26, v40, s60 dst_sel:DWORD dst_unused:UNUSED_PAD src0_sel:WORD_1 src1_sel:DWORD
	v_lshrrev_b32_e32 v2, 16, v40
	v_cmp_ne_u16_e32 vcc, 0, v26
	s_and_saveexec_b64 s[18:19], vcc
	s_cbranch_execz .LBB0_286
; %bb.281:                              ;   in Loop: Header=BB0_114 Depth=3
	v_cmp_ne_u16_e32 vcc, s61, v26
	v_bfrev_b32_e32 v16, 1
	s_and_saveexec_b64 s[46:47], vcc
	s_cbranch_execz .LBB0_285
; %bb.282:                              ;   in Loop: Header=BB0_114 Depth=3
	v_bfe_u32 v26, v40, 16, 7
	v_cmp_ne_u32_e32 vcc, s62, v26
	v_mov_b32_e32 v16, 0x7f800001
	s_and_saveexec_b64 s[48:49], vcc
	s_cbranch_execz .LBB0_284
; %bb.283:                              ;   in Loop: Header=BB0_114 Depth=3
	v_and_b32_e32 v16, 7, v2
	v_ffbh_u32_e32 v22, v16
	v_min_u32_e32 v36, 32, v22
	v_subrev_u32_e32 v22, 28, v36
	v_lshlrev_b64 v[22:23], v22, v[2:3]
	v_lshrrev_b32_e32 v27, 3, v26
	v_sub_u32_e32 v2, 29, v36
	v_and_b32_e32 v22, 7, v22
	v_cmp_gt_u32_e32 vcc, 8, v26
	v_cndmask_b32_e32 v2, v27, v2, vcc
	v_cndmask_b32_e32 v16, v16, v22, vcc
	v_lshlrev_b32_e32 v22, 8, v40
	v_lshlrev_b32_e32 v16, 20, v16
	v_and_b32_e32 v22, 0x80000000, v22
	v_lshl_add_u32 v2, v2, 23, v46
	v_or3_b32 v16, v22, v2, v16
.LBB0_284:                              ;   in Loop: Header=BB0_114 Depth=3
	s_or_b64 exec, exec, s[48:49]
.LBB0_285:                              ;   in Loop: Header=BB0_114 Depth=3
	s_or_b64 exec, exec, s[46:47]
.LBB0_286:                              ;   in Loop: Header=BB0_114 Depth=3
	s_or_b64 exec, exec, s[18:19]
	v_mul_f32_e32 v61, v17, v16
	v_and_b32_sdwa v2, v61, s61 dst_sel:DWORD dst_unused:UNUSED_PAD src0_sel:BYTE_3 src1_sel:DWORD
	v_and_b32_e32 v22, 0x7f800000, v61
	v_mov_b32_e32 v23, v41
	v_and_b32_e32 v16, 0x7fffff, v61
	v_mov_b32_e32 v17, v41
	v_or_b32_e32 v60, 0x7e, v2
	v_cmp_ne_u64_e32 vcc, s[36:37], v[22:23]
	s_and_saveexec_b64 s[18:19], vcc
	s_xor_b64 s[46:47], exec, s[18:19]
	s_cbranch_execz .LBB0_296
; %bb.287:                              ;   in Loop: Header=BB0_114 Depth=3
	v_and_b32_e32 v22, 0x7fffffff, v61
	v_mov_b32_e32 v23, v41
	v_cmp_gt_u64_e32 vcc, s[38:39], v[22:23]
	s_and_saveexec_b64 s[48:49], vcc
	s_cbranch_execz .LBB0_295
; %bb.288:                              ;   in Loop: Header=BB0_114 Depth=3
	v_cmp_ne_u32_e32 vcc, 0, v61
	v_mov_b32_e32 v60, 0
	s_and_saveexec_b64 s[50:51], vcc
	s_cbranch_execz .LBB0_294
; %bb.289:                              ;   in Loop: Header=BB0_114 Depth=3
	v_bfe_u32 v22, v61, 23, 8
	v_sub_u32_e32 v26, 0x79, v22
	v_cmp_gt_u32_e32 vcc, s63, v22
	v_cndmask_b32_e32 v26, 0, v26, vcc
	v_cmp_eq_u32_e32 vcc, 0, v22
	v_cndmask_b32_e32 v26, v26, v30, vcc
	v_add_u32_e32 v23, 0xffffff81, v22
	v_add_u32_e32 v22, 20, v26
	v_or_b32_e32 v27, 0x800000, v16
	v_cndmask_b32_e32 v60, v23, v47, vcc
	v_lshlrev_b64 v[22:23], v22, -1
	v_cndmask_b32_e32 v16, v27, v16, vcc
	v_not_b32_e32 v22, v22
	v_and_b32_e32 v22, v16, v22
	v_add_u32_e32 v27, 19, v26
	v_lshrrev_b64 v[16:17], v26, v[16:17]
	v_not_b32_e32 v23, v23
	v_lshlrev_b64 v[36:37], v27, 1
	v_lshrrev_b32_e32 v27, 23, v16
	v_and_b32_e32 v23, 0, v23
	v_add3_u32 v26, v26, v60, v27
	v_bfe_u32 v27, v16, 20, 1
	v_add_u32_e32 v27, -1, v27
	v_cmp_eq_u64_e32 vcc, v[22:23], v[36:37]
	v_cndmask_b32_e32 v22, 0, v27, vcc
	v_add_u32_e32 v22, v22, v16
	v_and_b32_e32 v22, 0xfffff, v22
	v_add_co_u32_e32 v16, vcc, v22, v16
	v_add_u32_e32 v61, 6, v26
	v_addc_co_u32_e32 v17, vcc, 0, v17, vcc
	v_cmp_ne_u32_e32 vcc, 0, v61
                                        ; implicit-def: $vgpr60
	s_and_saveexec_b64 s[18:19], vcc
	s_xor_b64 s[18:19], exec, s[18:19]
; %bb.290:                              ;   in Loop: Header=BB0_114 Depth=3
	v_add_u32_e32 v22, 7, v26
	v_cmp_lt_u64_e32 vcc, s[40:41], v[16:17]
	v_cndmask_b32_e32 v60, v61, v22, vcc
	v_cndmask_b32_e64 v22, 0, 1, vcc
	v_lshrrev_b64 v[16:17], v22, v[16:17]
; %bb.291:                              ;   in Loop: Header=BB0_114 Depth=3
	s_andn2_saveexec_b64 s[18:19], s[18:19]
; %bb.292:                              ;   in Loop: Header=BB0_114 Depth=3
	v_bfe_u32 v60, v16, 23, 1
; %bb.293:                              ;   in Loop: Header=BB0_114 Depth=3
	s_or_b64 exec, exec, s[18:19]
	v_lshrrev_b64 v[16:17], 20, v[16:17]
	v_cmp_gt_i32_e32 vcc, 16, v60
	v_cndmask_b32_e32 v17, 0, v17, vcc
	v_cndmask_b32_e32 v16, 7, v16, vcc
	v_cmp_eq_u64_e64 s[18:19], 0, v[16:17]
	v_min_i32_e32 v17, 15, v60
	v_lshlrev_b32_e32 v17, 3, v17
	v_cmp_eq_u32_e32 vcc, 0, v60
	v_and_b32_e32 v17, 0xf8, v17
	v_and_or_b32 v16, v16, 7, v17
	s_and_b64 s[18:19], vcc, s[18:19]
	v_cndmask_b32_e64 v16, v16, 0, s[18:19]
	v_or_b32_e32 v60, v16, v2
.LBB0_294:                              ;   in Loop: Header=BB0_114 Depth=3
	s_or_b64 exec, exec, s[50:51]
.LBB0_295:                              ;   in Loop: Header=BB0_114 Depth=3
	s_or_b64 exec, exec, s[48:49]
                                        ; implicit-def: $vgpr61
                                        ; implicit-def: $vgpr16_vgpr17
.LBB0_296:                              ;   in Loop: Header=BB0_114 Depth=3
	s_andn2_saveexec_b64 s[18:19], s[46:47]
; %bb.297:                              ;   in Loop: Header=BB0_114 Depth=3
	v_or_b32_sdwa v2, v61, s62 dst_sel:DWORD dst_unused:UNUSED_PAD src0_sel:BYTE_3 src1_sel:DWORD
	v_cmp_eq_u64_e32 vcc, 0, v[16:17]
	v_cndmask_b32_e32 v60, v2, v60, vcc
; %bb.298:                              ;   in Loop: Header=BB0_114 Depth=3
	s_or_b64 exec, exec, s[18:19]
	v_and_b32_e32 v16, 0xff000000, v18
	v_mov_b32_e32 v17, v41
	v_cmp_ne_u64_e32 vcc, 0, v[16:17]
	v_mov_b32_e32 v16, 0
	v_mov_b32_e32 v17, 0
	s_and_saveexec_b64 s[18:19], vcc
	s_cbranch_execz .LBB0_304
; %bb.299:                              ;   in Loop: Header=BB0_114 Depth=3
	v_lshrrev_b32_e32 v2, 24, v18
	v_cmp_ne_u32_e32 vcc, s61, v2
	v_bfrev_b32_e32 v17, 1
	s_and_saveexec_b64 s[46:47], vcc
	s_cbranch_execz .LBB0_303
; %bb.300:                              ;   in Loop: Header=BB0_114 Depth=3
	v_bfe_u32 v18, v18, 24, 7
	v_cmp_ne_u32_e32 vcc, s62, v18
	v_mov_b32_e32 v17, 0x7f800001
	s_and_saveexec_b64 s[48:49], vcc
	s_cbranch_execz .LBB0_302
; %bb.301:                              ;   in Loop: Header=BB0_114 Depth=3
	v_and_b32_e32 v17, 7, v2
	v_ffbh_u32_e32 v22, v17
	v_min_u32_e32 v27, 32, v22
	v_subrev_u32_e32 v22, 28, v27
	v_lshlrev_b64 v[22:23], v22, v[2:3]
	v_lshrrev_b32_e32 v26, 3, v18
	v_sub_u32_e32 v23, 29, v27
	v_and_b32_e32 v22, 7, v22
	v_cmp_gt_u32_e32 vcc, 8, v18
	v_cndmask_b32_e32 v18, v26, v23, vcc
	v_cndmask_b32_e32 v17, v17, v22, vcc
	v_lshlrev_b32_e32 v2, 24, v2
	v_lshlrev_b32_e32 v17, 20, v17
	v_and_b32_e32 v2, 0x80000000, v2
	v_lshl_add_u32 v18, v18, 23, v46
	v_or3_b32 v17, v2, v18, v17
.LBB0_302:                              ;   in Loop: Header=BB0_114 Depth=3
	s_or_b64 exec, exec, s[48:49]
.LBB0_303:                              ;   in Loop: Header=BB0_114 Depth=3
	s_or_b64 exec, exec, s[46:47]
.LBB0_304:                              ;   in Loop: Header=BB0_114 Depth=3
	s_or_b64 exec, exec, s[18:19]
	v_cmp_lt_u32_e32 vcc, s64, v40
	s_and_saveexec_b64 s[18:19], vcc
	s_cbranch_execz .LBB0_310
; %bb.305:                              ;   in Loop: Header=BB0_114 Depth=3
	v_lshrrev_b32_e32 v2, 24, v40
	v_cmp_ne_u32_sdwa vcc, v40, s61 src0_sel:BYTE_3 src1_sel:DWORD
	v_bfrev_b32_e32 v16, 1
	s_and_saveexec_b64 s[46:47], vcc
	s_cbranch_execz .LBB0_309
; %bb.306:                              ;   in Loop: Header=BB0_114 Depth=3
	v_bfe_u32 v18, v40, 24, 7
	v_cmp_ne_u32_e32 vcc, s62, v18
	v_mov_b32_e32 v16, 0x7f800001
	s_and_saveexec_b64 s[48:49], vcc
	s_cbranch_execz .LBB0_308
; %bb.307:                              ;   in Loop: Header=BB0_114 Depth=3
	v_and_b32_e32 v16, 7, v2
	v_ffbh_u32_e32 v22, v16
	v_min_u32_e32 v27, 32, v22
	v_subrev_u32_e32 v22, 28, v27
	v_lshlrev_b64 v[22:23], v22, v[2:3]
	v_lshrrev_b32_e32 v26, 3, v18
	v_sub_u32_e32 v2, 29, v27
	v_and_b32_e32 v22, 7, v22
	v_cmp_gt_u32_e32 vcc, 8, v18
	v_cndmask_b32_e32 v2, v26, v2, vcc
	v_cndmask_b32_e32 v16, v16, v22, vcc
	v_lshlrev_b32_sdwa v18, v6, v40 dst_sel:DWORD dst_unused:UNUSED_PAD src0_sel:DWORD src1_sel:BYTE_3
	v_lshlrev_b32_e32 v16, 20, v16
	v_and_b32_e32 v18, 0x80000000, v18
	v_lshl_add_u32 v2, v2, 23, v46
	v_or3_b32 v16, v18, v2, v16
.LBB0_308:                              ;   in Loop: Header=BB0_114 Depth=3
	s_or_b64 exec, exec, s[48:49]
.LBB0_309:                              ;   in Loop: Header=BB0_114 Depth=3
	s_or_b64 exec, exec, s[46:47]
.LBB0_310:                              ;   in Loop: Header=BB0_114 Depth=3
	s_or_b64 exec, exec, s[18:19]
	v_mul_f32_e32 v17, v17, v16
	v_and_b32_sdwa v2, v17, s61 dst_sel:DWORD dst_unused:UNUSED_PAD src0_sel:BYTE_3 src1_sel:DWORD
	v_and_b32_e32 v22, 0x7f800000, v17
	v_mov_b32_e32 v23, v41
	v_and_b32_e32 v40, 0x7fffff, v17
	v_or_b32_e32 v16, 0x7e, v2
	v_cmp_ne_u64_e32 vcc, s[36:37], v[22:23]
	s_and_saveexec_b64 s[18:19], vcc
	s_xor_b64 s[46:47], exec, s[18:19]
	s_cbranch_execz .LBB0_320
; %bb.311:                              ;   in Loop: Header=BB0_114 Depth=3
	v_and_b32_e32 v22, 0x7fffffff, v17
	v_mov_b32_e32 v23, v41
	v_cmp_gt_u64_e32 vcc, s[38:39], v[22:23]
	s_and_saveexec_b64 s[48:49], vcc
	s_cbranch_execz .LBB0_319
; %bb.312:                              ;   in Loop: Header=BB0_114 Depth=3
	v_cmp_ne_u32_e32 vcc, 0, v17
	v_mov_b32_e32 v16, 0
	s_and_saveexec_b64 s[50:51], vcc
	s_cbranch_execz .LBB0_318
; %bb.313:                              ;   in Loop: Header=BB0_114 Depth=3
	v_bfe_u32 v16, v17, 23, 8
	v_sub_u32_e32 v18, 0x79, v16
	v_cmp_gt_u32_e32 vcc, s63, v16
	v_cndmask_b32_e32 v18, 0, v18, vcc
	v_cmp_eq_u32_e32 vcc, 0, v16
	v_or_b32_e32 v22, 0x800000, v40
	v_cndmask_b32_e32 v18, v18, v30, vcc
	v_add_u32_e32 v17, 0xffffff81, v16
	v_cndmask_b32_e32 v40, v22, v40, vcc
	v_add_u32_e32 v16, 20, v18
	v_cndmask_b32_e32 v26, v17, v47, vcc
	v_lshlrev_b64 v[16:17], v16, -1
	v_lshrrev_b64 v[36:37], v18, v[40:41]
	v_not_b32_e32 v17, v17
	v_not_b32_e32 v16, v16
	v_add_u32_e32 v22, 19, v18
	v_lshrrev_b32_e32 v27, 23, v36
	v_and_b32_e32 v17, 0, v17
	v_and_b32_e32 v16, v40, v16
	v_lshlrev_b64 v[22:23], v22, 1
	v_add3_u32 v26, v18, v26, v27
	v_bfe_u32 v18, v36, 20, 1
	v_add_u32_e32 v18, -1, v18
	v_cmp_eq_u64_e32 vcc, v[16:17], v[22:23]
	v_cndmask_b32_e32 v16, 0, v18, vcc
	v_add_u32_e32 v16, v16, v36
	v_and_b32_e32 v16, 0xfffff, v16
	v_add_co_u32_e32 v16, vcc, v16, v36
	v_add_u32_e32 v40, 6, v26
	v_addc_co_u32_e32 v17, vcc, 0, v37, vcc
	v_cmp_ne_u32_e32 vcc, 0, v40
                                        ; implicit-def: $vgpr18
	s_and_saveexec_b64 s[18:19], vcc
	s_xor_b64 s[18:19], exec, s[18:19]
; %bb.314:                              ;   in Loop: Header=BB0_114 Depth=3
	v_cmp_lt_u64_e32 vcc, s[40:41], v[16:17]
	v_add_u32_e32 v18, 7, v26
	v_cndmask_b32_e64 v22, 0, 1, vcc
	v_cndmask_b32_e32 v18, v40, v18, vcc
	v_lshrrev_b64 v[16:17], v22, v[16:17]
; %bb.315:                              ;   in Loop: Header=BB0_114 Depth=3
	s_andn2_saveexec_b64 s[18:19], s[18:19]
; %bb.316:                              ;   in Loop: Header=BB0_114 Depth=3
	v_bfe_u32 v18, v16, 23, 1
; %bb.317:                              ;   in Loop: Header=BB0_114 Depth=3
	s_or_b64 exec, exec, s[18:19]
	v_lshrrev_b64 v[16:17], 20, v[16:17]
	v_cmp_gt_i32_e32 vcc, 16, v18
	v_cndmask_b32_e32 v17, 0, v17, vcc
	v_cndmask_b32_e32 v16, 7, v16, vcc
	v_cmp_eq_u64_e64 s[18:19], 0, v[16:17]
	v_min_i32_e32 v17, 15, v18
	v_lshlrev_b32_e32 v17, 3, v17
	v_cmp_eq_u32_e32 vcc, 0, v18
	v_and_b32_e32 v17, 0xf8, v17
	v_and_or_b32 v16, v16, 7, v17
	s_and_b64 s[18:19], vcc, s[18:19]
	v_cndmask_b32_e64 v16, v16, 0, s[18:19]
	v_or_b32_e32 v16, v16, v2
.LBB0_318:                              ;   in Loop: Header=BB0_114 Depth=3
	s_or_b64 exec, exec, s[50:51]
.LBB0_319:                              ;   in Loop: Header=BB0_114 Depth=3
	s_or_b64 exec, exec, s[48:49]
                                        ; implicit-def: $vgpr17
.LBB0_320:                              ;   in Loop: Header=BB0_114 Depth=3
	s_andn2_saveexec_b64 s[18:19], s[46:47]
	s_cbranch_execz .LBB0_113
; %bb.321:                              ;   in Loop: Header=BB0_114 Depth=3
	v_or_b32_sdwa v2, v17, s62 dst_sel:DWORD dst_unused:UNUSED_PAD src0_sel:BYTE_3 src1_sel:DWORD
	v_cmp_eq_u64_e32 vcc, 0, v[40:41]
	v_cndmask_b32_e32 v16, v2, v16, vcc
	s_branch .LBB0_113
.LBB0_322:                              ;   in Loop: Header=BB0_70 Depth=2
	s_or_b64 exec, exec, s[44:45]
	s_or_b64 exec, exec, s[42:43]
	s_and_saveexec_b64 s[18:19], s[10:11]
	s_cbranch_execz .LBB0_74
.LBB0_323:                              ;   in Loop: Header=BB0_70 Depth=2
	s_and_saveexec_b64 vcc, s[28:29]
	s_xor_b64 s[42:43], exec, vcc
	s_cbranch_execz .LBB0_338
; %bb.324:                              ;   in Loop: Header=BB0_70 Depth=2
	s_and_saveexec_b64 s[44:45], s[12:13]
	s_cbranch_execz .LBB0_337
; %bb.325:                              ;   in Loop: Header=BB0_70 Depth=2
	s_mov_b64 s[48:49], exec
	v_mbcnt_lo_u32_b32 v1, s48, 0
	v_mbcnt_hi_u32_b32 v1, s49, v1
	v_cmp_eq_u32_e32 vcc, 0, v1
	s_waitcnt vmcnt(0) lgkmcnt(0)
	buffer_wbinvl1_vol
	s_and_saveexec_b64 s[46:47], vcc
	s_cbranch_execz .LBB0_327
; %bb.326:                              ;   in Loop: Header=BB0_70 Depth=2
	s_bcnt1_i32_b64 vcc_lo, s[48:49]
	v_mov_b32_e32 v40, vcc_lo
	ds_add_u64 v0, v[40:41]
	s_trap 2
.LBB0_327:                              ;   in Loop: Header=BB0_70 Depth=2
	s_or_b64 exec, exec, s[46:47]
	s_trap 2
	ds_read_b64 v[2:3], v0
	v_accvgpr_read_b32 v4, a26
	v_add_co_u32_e32 v42, vcc, v42, v4
	v_accvgpr_read_b32 v1, a27
	v_addc_co_u32_e32 v43, vcc, v43, v1, vcc
	s_waitcnt lgkmcnt(0)
	v_cmp_lt_u64_e32 vcc, v[2:3], v[42:43]
	s_and_saveexec_b64 s[46:47], vcc
	s_cbranch_execz .LBB0_336
; %bb.328:                              ;   in Loop: Header=BB0_70 Depth=2
	s_mov_b32 s70, 0
	s_mov_b64 s[48:49], 0
                                        ; implicit-def: $sgpr50_sgpr51
                                        ; implicit-def: $sgpr52_sgpr53
	s_branch .LBB0_330
.LBB0_329:                              ;   in Loop: Header=BB0_330 Depth=3
	s_or_b64 exec, exec, s[56:57]
	s_and_b64 vcc, exec, vcc
	s_or_b64 s[48:49], vcc, s[48:49]
	s_andn2_b64 vcc, s[50:51], exec
	s_and_b64 s[50:51], s[52:53], exec
	s_or_b64 s[50:51], vcc, s[50:51]
	s_andn2_b64 exec, exec, s[48:49]
	s_cbranch_execz .LBB0_334
.LBB0_330:                              ;   Parent Loop BB0_21 Depth=1
                                        ;     Parent Loop BB0_70 Depth=2
                                        ; =>    This Inner Loop Header: Depth=3
	s_add_i32 s70, s70, 1
	s_cmpk_lg_i32 s70, 0x2710
	s_cselect_b64 s[54:55], -1, 0
	s_and_b64 vcc, exec, s[54:55]
                                        ; implicit-def: $sgpr56_sgpr57
	s_cbranch_vccnz .LBB0_332
; %bb.331:                              ;   in Loop: Header=BB0_330 Depth=3
	s_trap 2
	ds_read_b64 v[2:3], v0
	s_andn2_b64 s[54:55], s[54:55], exec
	s_mov_b32 s70, 0
	s_mov_b64 s[56:57], -1
	s_waitcnt lgkmcnt(0)
	flat_load_dword v1, v[2:3] glc
	s_waitcnt vmcnt(0) lgkmcnt(0)
	buffer_invl2
	buffer_wbinvl1_vol
	v_cmp_eq_u32_e32 vcc, 0, v1
	s_and_b64 vcc, vcc, exec
	s_or_b64 s[54:55], s[54:55], vcc
.LBB0_332:                              ;   in Loop: Header=BB0_330 Depth=3
	s_andn2_b64 s[52:53], s[52:53], exec
	s_and_b64 s[56:57], s[56:57], exec
	s_mov_b64 vcc, -1
	s_or_b64 s[52:53], s[52:53], s[56:57]
	s_and_saveexec_b64 s[56:57], s[54:55]
	s_cbranch_execz .LBB0_329
; %bb.333:                              ;   in Loop: Header=BB0_330 Depth=3
	s_sleep 1
	s_trap 2
	ds_read_b64 v[2:3], v0
	s_andn2_b64 s[52:53], s[52:53], exec
	s_waitcnt lgkmcnt(0)
	v_cmp_ge_u64_e32 vcc, v[2:3], v[42:43]
	s_orn2_b64 vcc, vcc, exec
	s_branch .LBB0_329
.LBB0_334:                              ;   in Loop: Header=BB0_70 Depth=2
	s_or_b64 exec, exec, s[48:49]
	s_and_saveexec_b64 vcc, s[50:51]
	s_xor_b64 vcc, exec, vcc
	s_cbranch_execz .LBB0_336
; %bb.335:                              ;   in Loop: Header=BB0_70 Depth=2
	v_mov_b32_e32 v1, 1
	ds_write_b32 v0, v1
	s_trap 2
.LBB0_336:                              ;   in Loop: Header=BB0_70 Depth=2
	s_or_b64 exec, exec, s[46:47]
	;;#ASMSTART
	s_wakeup
	;;#ASMEND
.LBB0_337:                              ;   in Loop: Header=BB0_70 Depth=2
	s_or_b64 exec, exec, s[44:45]
.LBB0_338:                              ;   in Loop: Header=BB0_70 Depth=2
	s_andn2_saveexec_b64 vcc, s[42:43]
	s_cbranch_execz .LBB0_340
; %bb.339:                              ;   in Loop: Header=BB0_70 Depth=2
	s_waitcnt vmcnt(0) lgkmcnt(0)
	buffer_wbinvl1_vol
	s_barrier
.LBB0_340:                              ;   in Loop: Header=BB0_70 Depth=2
	s_or_b64 exec, exec, vcc
	s_or_b64 exec, exec, s[18:19]
	s_and_saveexec_b64 s[18:19], s[14:15]
	s_cbranch_execnz .LBB0_75
	s_branch .LBB0_76
.LBB0_341:                              ;   in Loop: Header=BB0_21 Depth=1
	v_accvgpr_write_b32 a43, v1
	v_accvgpr_write_b32 a42, v2
	v_pk_mov_b32 v[16:17], v[28:29], v[28:29] op_sel:[0,1]
	s_branch .LBB0_343
.LBB0_342:                              ;   in Loop: Header=BB0_21 Depth=1
	v_accvgpr_read_b32 v37, a9
	v_accvgpr_read_b32 v55, a41
	v_pk_mov_b32 v[16:17], v[28:29], v[28:29] op_sel:[0,1]
	v_accvgpr_read_b32 v36, a8
	v_accvgpr_read_b32 v54, a40
.LBB0_343:                              ;   in Loop: Header=BB0_21 Depth=1
	v_accvgpr_read_b32 v29, a36
	v_accvgpr_read_b32 v4, a42
	;; [unrolled: 1-line block ×3, first 2 shown]
; %bb.344:                              ;   in Loop: Header=BB0_21 Depth=1
	s_and_saveexec_b64 s[18:19], s[16:17]
	s_cbranch_execz .LBB0_574
; %bb.345:                              ;   in Loop: Header=BB0_21 Depth=1
	v_accvgpr_read_b32 v0, a4
	v_accvgpr_read_b32 v1, a5
	flat_load_dword v8, v[0:1]
	s_waitcnt vmcnt(0) lgkmcnt(0)
	v_accvgpr_read_b32 v2, a10
	v_accvgpr_read_b32 v3, a11
	v_add_co_u32_e32 v2, vcc, v2, v4
	v_addc_co_u32_e32 v3, vcc, v3, v5, vcc
	v_accvgpr_read_b32 v0, a32
	v_add_co_u32_e32 v0, vcc, v0, v4
	v_and_b32_e32 v4, 7, v34
	v_accvgpr_read_b32 v1, a33
	v_mul_lo_u32 v4, v4, s58
	v_addc_co_u32_e32 v1, vcc, v1, v5, vcc
	v_ashrrev_i32_e32 v5, 31, v4
	v_lshlrev_b64 v[4:5], 4, v[4:5]
	v_accvgpr_read_b32 v10, a16
	v_accvgpr_read_b32 v11, a17
	v_add_co_u32_e32 v25, vcc, v10, v4
	v_addc_co_u32_e32 v28, vcc, v11, v5, vcc
	v_accvgpr_read_b32 v5, a23
	v_accvgpr_read_b32 v9, a22
	v_add_u32_e32 v24, 1, v34
	s_mov_b64 s[42:43], 0
	v_mov_b32_e32 v26, v44
	v_ashrrev_i32_e32 v4, 31, v8
	v_mul_lo_u32 v5, v5, v8
	v_mad_u64_u32 v[2:3], s[16:17], v9, v8, v[2:3]
	v_mul_lo_u32 v4, v9, v4
	v_add3_u32 v3, v5, v3, v4
	v_accvgpr_read_b32 v4, a28
	v_add_co_u32_e32 v18, vcc, v2, v4
	v_accvgpr_read_b32 v5, a29
	v_addc_co_u32_e32 v19, vcc, v3, v5, vcc
	s_branch .LBB0_347
.LBB0_346:                              ;   in Loop: Header=BB0_347 Depth=2
	v_add_co_u32_e32 v18, vcc, v18, v56
	v_addc_co_u32_e32 v19, vcc, v19, v45, vcc
	v_add_co_u32_e32 v0, vcc, v0, v56
	v_addc_co_u32_e32 v1, vcc, v1, v45, vcc
	v_sub_u32_e32 v21, v21, v56
	v_cmp_gt_i32_e32 vcc, 1, v21
	s_or_b64 s[42:43], vcc, s[42:43]
	v_add_u32_e32 v26, v26, v20
	s_andn2_b64 exec, exec, s[42:43]
	s_cbranch_execz .LBB0_573
.LBB0_347:                              ;   Parent Loop BB0_21 Depth=1
                                        ; =>  This Loop Header: Depth=2
                                        ;       Child Loop BB0_355 Depth 3
	v_and_b32_e32 v2, -4, v18
	v_mov_b32_e32 v3, v19
	global_load_dword v8, v[2:3], off glc slc
	v_min_u32_e32 v4, 8, v21
	v_and_b32_e32 v5, 3, v18
	v_add_co_u32_e32 v4, vcc, v5, v4
	v_addc_co_u32_e64 v5, s[16:17], 0, 0, vcc
	v_mov_b32_e32 v29, 0
	v_cmp_lt_u64_e32 vcc, 4, v[4:5]
	v_mov_b32_e32 v31, 0
	s_and_saveexec_b64 s[16:17], vcc
	s_cbranch_execz .LBB0_349
; %bb.348:                              ;   in Loop: Header=BB0_347 Depth=2
	global_load_dword v31, v[2:3], off offset:4 glc slc
.LBB0_349:                              ;   in Loop: Header=BB0_347 Depth=2
	s_or_b64 exec, exec, s[16:17]
	v_cmp_lt_u64_e32 vcc, 8, v[4:5]
	s_and_saveexec_b64 s[16:17], vcc
	s_cbranch_execz .LBB0_351
; %bb.350:                              ;   in Loop: Header=BB0_347 Depth=2
	global_load_dword v29, v[2:3], off offset:8 glc slc
.LBB0_351:                              ;   in Loop: Header=BB0_347 Depth=2
	s_or_b64 exec, exec, s[16:17]
	v_ashrrev_i32_e32 v27, 31, v26
	v_lshlrev_b64 v[2:3], 4, v[26:27]
	v_add_co_u32_e32 v10, vcc, v25, v2
	v_addc_co_u32_e32 v11, vcc, v28, v3, vcc
	global_load_dwordx4 v[2:5], v[10:11], off glc slc
	v_cmp_eq_u32_e32 vcc, 0, v7
	s_and_saveexec_b64 s[44:45], vcc
	s_cbranch_execz .LBB0_363
; %bb.352:                              ;   in Loop: Header=BB0_347 Depth=2
	s_waitcnt vmcnt(0)
	v_cmp_ne_u32_e32 vcc, v24, v3
	v_cmp_ne_u32_e64 s[16:17], v24, v5
	s_or_b64 s[16:17], vcc, s[16:17]
	v_mov_b32_e32 v7, 0
	s_and_saveexec_b64 s[46:47], s[16:17]
	s_cbranch_execz .LBB0_362
; %bb.353:                              ;   in Loop: Header=BB0_347 Depth=2
	s_mov_b32 s52, 1
	s_mov_b64 s[48:49], 0
	v_mov_b32_e32 v7, 0
	s_branch .LBB0_355
.LBB0_354:                              ;   in Loop: Header=BB0_355 Depth=3
	s_or_b64 exec, exec, s[50:51]
	s_and_b64 s[16:17], exec, s[16:17]
	s_or_b64 s[48:49], s[16:17], s[48:49]
	s_andn2_b64 exec, exec, s[48:49]
	s_cbranch_execz .LBB0_361
.LBB0_355:                              ;   Parent Loop BB0_21 Depth=1
                                        ;     Parent Loop BB0_347 Depth=2
                                        ; =>    This Inner Loop Header: Depth=3
	global_load_dwordx4 v[2:5], v[10:11], off glc slc
	s_add_i32 s52, s52, 1
	s_cmpk_lg_i32 s52, 0x2710
	s_cbranch_scc1 .LBB0_359
; %bb.356:                              ;   in Loop: Header=BB0_355 Depth=3
	s_trap 2
	ds_read_b64 v[32:33], v0
	s_waitcnt vmcnt(0) lgkmcnt(0)
	flat_load_dword v9, v[32:33] glc
	s_waitcnt vmcnt(0) lgkmcnt(0)
	buffer_invl2
	buffer_wbinvl1_vol
	v_cmp_ne_u32_e32 vcc, 0, v9
	s_and_saveexec_b64 s[16:17], vcc
	s_cbranch_execz .LBB0_358
; %bb.357:                              ;   in Loop: Header=BB0_355 Depth=3
	v_mov_b32_e32 v7, 1
	ds_write_b32 v0, v9
	s_trap 2
.LBB0_358:                              ;   in Loop: Header=BB0_355 Depth=3
	s_or_b64 exec, exec, s[16:17]
	s_mov_b32 s52, 0
	v_mov_b32_e32 v9, v7
	v_cmp_eq_u32_e32 vcc, 0, v9
	s_mov_b64 s[16:17], -1
	s_and_saveexec_b64 s[50:51], vcc
	s_cbranch_execz .LBB0_354
	s_branch .LBB0_360
.LBB0_359:                              ;   in Loop: Header=BB0_355 Depth=3
	v_mov_b32_e32 v9, 0
	v_cmp_eq_u32_e32 vcc, 0, v9
	s_mov_b64 s[16:17], -1
	s_and_saveexec_b64 s[50:51], vcc
	s_cbranch_execz .LBB0_354
.LBB0_360:                              ;   in Loop: Header=BB0_355 Depth=3
	s_waitcnt vmcnt(0)
	v_cmp_eq_u32_e32 vcc, v24, v3
	v_cmp_eq_u32_e64 s[16:17], v24, v5
	s_and_b64 s[16:17], vcc, s[16:17]
	s_orn2_b64 s[16:17], s[16:17], exec
	s_branch .LBB0_354
.LBB0_361:                              ;   in Loop: Header=BB0_347 Depth=2
	s_or_b64 exec, exec, s[48:49]
.LBB0_362:                              ;   in Loop: Header=BB0_347 Depth=2
	s_or_b64 exec, exec, s[46:47]
.LBB0_363:                              ;   in Loop: Header=BB0_347 Depth=2
	s_or_b64 exec, exec, s[44:45]
	s_waitcnt vmcnt(0)
	v_cmp_ne_u16_sdwa vcc, v2, v41 src0_sel:BYTE_0 src1_sel:DWORD
	v_mov_b32_e32 v9, 0
	v_mov_b32_e32 v10, 0
	s_and_saveexec_b64 s[16:17], vcc
	s_cbranch_execz .LBB0_369
; %bb.364:                              ;   in Loop: Header=BB0_347 Depth=2
	v_cmp_ne_u16_sdwa vcc, v2, s61 src0_sel:BYTE_0 src1_sel:DWORD
	v_bfrev_b32_e32 v10, 1
	s_and_saveexec_b64 s[44:45], vcc
	s_cbranch_execz .LBB0_368
; %bb.365:                              ;   in Loop: Header=BB0_347 Depth=2
	v_and_b32_e32 v11, 0x7f, v2
	v_cmp_ne_u32_e32 vcc, s62, v11
	v_mov_b32_e32 v10, 0x7f800001
	s_and_saveexec_b64 s[46:47], vcc
	s_cbranch_execz .LBB0_367
; %bb.366:                              ;   in Loop: Header=BB0_347 Depth=2
	v_and_b32_e32 v10, 7, v2
	v_ffbh_u32_e32 v10, v10
	v_min_u32_e32 v10, 32, v10
	v_lshrrev_b32_e32 v22, 3, v11
	v_subrev_u32_e32 v23, 28, v10
	v_sub_u32_e32 v10, 29, v10
	v_cmp_gt_u32_e32 vcc, 8, v11
	v_cndmask_b32_e32 v22, v22, v10, vcc
	v_cndmask_b32_e32 v10, 0, v23, vcc
	v_lshlrev_b64 v[10:11], v10, v[2:3]
	v_lshlrev_b32_e32 v3, 20, v10
	v_lshlrev_b32_e32 v10, 24, v2
	v_and_b32_e32 v3, 0x700000, v3
	v_and_b32_e32 v10, 0x80000000, v10
	v_lshl_add_u32 v11, v22, 23, v46
	v_or3_b32 v10, v10, v11, v3
.LBB0_367:                              ;   in Loop: Header=BB0_347 Depth=2
	s_or_b64 exec, exec, s[46:47]
.LBB0_368:                              ;   in Loop: Header=BB0_347 Depth=2
	s_or_b64 exec, exec, s[44:45]
.LBB0_369:                              ;   in Loop: Header=BB0_347 Depth=2
	s_or_b64 exec, exec, s[16:17]
	v_lshlrev_b32_e32 v32, 3, v18
	v_alignbit_b32 v40, v31, v8, v32
	v_cmp_ne_u16_sdwa vcc, v40, v41 src0_sel:BYTE_0 src1_sel:DWORD
	s_and_saveexec_b64 s[16:17], vcc
	s_cbranch_execz .LBB0_375
; %bb.370:                              ;   in Loop: Header=BB0_347 Depth=2
	v_cmp_ne_u16_sdwa vcc, v40, s61 src0_sel:BYTE_0 src1_sel:DWORD
	v_bfrev_b32_e32 v9, 1
	s_and_saveexec_b64 s[44:45], vcc
	s_cbranch_execz .LBB0_374
; %bb.371:                              ;   in Loop: Header=BB0_347 Depth=2
	v_and_b32_e32 v3, 0x7f, v40
	v_cmp_ne_u32_e32 vcc, s62, v3
	v_mov_b32_e32 v9, 0x7f800001
	s_and_saveexec_b64 s[46:47], vcc
	s_cbranch_execz .LBB0_373
; %bb.372:                              ;   in Loop: Header=BB0_347 Depth=2
	v_and_b32_e32 v8, 7, v40
	v_ffbh_u32_e32 v8, v8
	v_min_u32_e32 v8, 32, v8
	v_lshrrev_b32_e32 v9, 3, v3
	v_subrev_u32_e32 v11, 28, v8
	v_sub_u32_e32 v8, 29, v8
	v_cmp_gt_u32_e32 vcc, 8, v3
	v_cndmask_b32_e32 v3, v9, v8, vcc
	v_cndmask_b32_e32 v8, 0, v11, vcc
	v_lshlrev_b64 v[8:9], v8, v[40:41]
	v_lshlrev_b32_e32 v8, 20, v8
	v_lshlrev_b32_e32 v9, 24, v40
	v_and_b32_e32 v8, 0x700000, v8
	v_and_b32_e32 v9, 0x80000000, v9
	v_lshl_add_u32 v3, v3, 23, v46
	v_or3_b32 v9, v9, v3, v8
.LBB0_373:                              ;   in Loop: Header=BB0_347 Depth=2
	s_or_b64 exec, exec, s[46:47]
.LBB0_374:                              ;   in Loop: Header=BB0_347 Depth=2
	s_or_b64 exec, exec, s[44:45]
.LBB0_375:                              ;   in Loop: Header=BB0_347 Depth=2
	s_or_b64 exec, exec, s[16:17]
	v_mul_f32_e32 v9, v10, v9
	v_and_b32_sdwa v3, v9, s61 dst_sel:DWORD dst_unused:UNUSED_PAD src0_sel:BYTE_3 src1_sel:DWORD
	v_and_b32_e32 v48, 0x7f800000, v9
	v_mov_b32_e32 v49, v41
	v_and_b32_e32 v10, 0x7fffff, v9
	v_mov_b32_e32 v11, v41
	v_or_b32_e32 v8, 0x7e, v3
	v_cmp_ne_u64_e32 vcc, s[36:37], v[48:49]
	s_and_saveexec_b64 s[16:17], vcc
	s_xor_b64 s[44:45], exec, s[16:17]
	s_cbranch_execz .LBB0_385
; %bb.376:                              ;   in Loop: Header=BB0_347 Depth=2
	v_and_b32_e32 v48, 0x7fffffff, v9
	v_mov_b32_e32 v49, v41
	v_cmp_gt_u64_e32 vcc, s[38:39], v[48:49]
	s_and_saveexec_b64 s[46:47], vcc
	s_cbranch_execz .LBB0_384
; %bb.377:                              ;   in Loop: Header=BB0_347 Depth=2
	v_cmp_ne_u32_e32 vcc, 0, v9
	v_mov_b32_e32 v8, 0
	s_and_saveexec_b64 s[48:49], vcc
	s_cbranch_execz .LBB0_383
; %bb.378:                              ;   in Loop: Header=BB0_347 Depth=2
	v_bfe_u32 v8, v9, 23, 8
	v_cmp_eq_u32_e32 vcc, 0, v8
	v_add_u32_e32 v9, 0xffffff81, v8
	v_cmp_gt_u32_e64 s[16:17], s63, v8
	v_sub_u32_e32 v8, 0x79, v8
	v_cndmask_b32_e64 v8, 0, v8, s[16:17]
	v_cndmask_b32_e32 v27, v8, v30, vcc
	v_add_u32_e32 v8, 20, v27
	v_or_b32_e32 v22, 0x800000, v10
	v_cndmask_b32_e32 v23, v9, v47, vcc
	v_lshlrev_b64 v[8:9], v8, -1
	v_cndmask_b32_e32 v10, v22, v10, vcc
	v_not_b32_e32 v9, v9
	v_not_b32_e32 v8, v8
	v_add_u32_e32 v22, 19, v27
	v_and_b32_e32 v9, 0, v9
	v_and_b32_e32 v8, v10, v8
	v_lshlrev_b64 v[48:49], v22, 1
	v_lshrrev_b64 v[10:11], v27, v[10:11]
	v_cmp_eq_u64_e32 vcc, v[8:9], v[48:49]
	v_lshrrev_b32_e32 v8, 23, v10
	v_add3_u32 v27, v27, v23, v8
	v_bfe_u32 v8, v10, 20, 1
	v_add_u32_e32 v8, -1, v8
	v_cndmask_b32_e32 v8, 0, v8, vcc
	v_add_u32_e32 v8, v8, v10
	v_and_b32_e32 v8, 0xfffff, v8
	v_add_co_u32_e32 v10, vcc, v8, v10
	v_add_u32_e32 v9, 6, v27
	v_addc_co_u32_e32 v11, vcc, 0, v11, vcc
	v_cmp_ne_u32_e32 vcc, 0, v9
                                        ; implicit-def: $vgpr8
	s_and_saveexec_b64 s[16:17], vcc
	s_xor_b64 s[16:17], exec, s[16:17]
; %bb.379:                              ;   in Loop: Header=BB0_347 Depth=2
	v_add_u32_e32 v8, 7, v27
	v_cmp_lt_u64_e32 vcc, s[40:41], v[10:11]
	v_cndmask_b32_e32 v8, v9, v8, vcc
	v_cndmask_b32_e64 v9, 0, 1, vcc
	v_lshrrev_b64 v[10:11], v9, v[10:11]
; %bb.380:                              ;   in Loop: Header=BB0_347 Depth=2
	s_andn2_saveexec_b64 s[16:17], s[16:17]
; %bb.381:                              ;   in Loop: Header=BB0_347 Depth=2
	v_bfe_u32 v8, v10, 23, 1
; %bb.382:                              ;   in Loop: Header=BB0_347 Depth=2
	s_or_b64 exec, exec, s[16:17]
	v_lshrrev_b64 v[10:11], 20, v[10:11]
	v_cmp_gt_i32_e32 vcc, 16, v8
	v_cndmask_b32_e32 v11, 0, v11, vcc
	v_cndmask_b32_e32 v10, 7, v10, vcc
	v_cmp_eq_u32_e32 vcc, 0, v8
	v_min_i32_e32 v8, 15, v8
	v_cmp_eq_u64_e64 s[16:17], 0, v[10:11]
	v_lshlrev_b32_e32 v8, 3, v8
	v_and_or_b32 v8, v10, 7, v8
	s_and_b64 s[16:17], vcc, s[16:17]
	v_cndmask_b32_e64 v8, v8, 0, s[16:17]
	v_or_b32_e32 v8, v8, v3
.LBB0_383:                              ;   in Loop: Header=BB0_347 Depth=2
	s_or_b64 exec, exec, s[48:49]
.LBB0_384:                              ;   in Loop: Header=BB0_347 Depth=2
	s_or_b64 exec, exec, s[46:47]
                                        ; implicit-def: $vgpr9
                                        ; implicit-def: $vgpr10_vgpr11
.LBB0_385:                              ;   in Loop: Header=BB0_347 Depth=2
	s_andn2_saveexec_b64 s[16:17], s[44:45]
; %bb.386:                              ;   in Loop: Header=BB0_347 Depth=2
	v_or_b32_sdwa v3, v9, s62 dst_sel:DWORD dst_unused:UNUSED_PAD src0_sel:BYTE_3 src1_sel:DWORD
	v_cmp_eq_u64_e32 vcc, 0, v[10:11]
	v_cndmask_b32_e32 v8, v3, v8, vcc
; %bb.387:                              ;   in Loop: Header=BB0_347 Depth=2
	s_or_b64 exec, exec, s[16:17]
	v_lshrrev_b16_e32 v10, 8, v2
	v_cmp_ne_u16_e32 vcc, 0, v10
	v_mov_b32_e32 v3, 0
	v_mov_b32_e32 v9, 0
	s_and_saveexec_b64 s[16:17], vcc
	s_cbranch_execz .LBB0_393
; %bb.388:                              ;   in Loop: Header=BB0_347 Depth=2
	v_cmp_ne_u16_e32 vcc, s61, v10
	v_bfrev_b32_e32 v9, 1
	s_and_saveexec_b64 s[44:45], vcc
	s_cbranch_execz .LBB0_392
; %bb.389:                              ;   in Loop: Header=BB0_347 Depth=2
	v_and_b32_e32 v11, 0x7f, v10
	v_cmp_ne_u32_e32 vcc, s62, v11
	v_mov_b32_e32 v9, 0x7f800001
	s_and_saveexec_b64 s[46:47], vcc
	s_cbranch_execz .LBB0_391
; %bb.390:                              ;   in Loop: Header=BB0_347 Depth=2
	v_and_b32_e32 v9, 7, v10
	v_ffbh_u32_e32 v23, v9
	v_min_u32_e32 v23, 32, v23
	v_subrev_u32_e32 v27, 28, v23
	v_lshlrev_b64 v[48:49], v27, v[10:11]
	v_lshrrev_b32_e32 v22, 3, v11
	v_sub_u32_e32 v10, 29, v23
	v_and_b32_e32 v23, 7, v48
	v_cmp_gt_u32_e32 vcc, 8, v11
	v_cndmask_b32_e32 v10, v22, v10, vcc
	v_cndmask_b32_e32 v9, v9, v23, vcc
	v_lshlrev_b32_e32 v11, 16, v2
	v_lshlrev_b32_e32 v9, 20, v9
	v_and_b32_e32 v11, 0x80000000, v11
	v_lshl_add_u32 v10, v10, 23, v46
	v_or3_b32 v9, v11, v10, v9
.LBB0_391:                              ;   in Loop: Header=BB0_347 Depth=2
	s_or_b64 exec, exec, s[46:47]
.LBB0_392:                              ;   in Loop: Header=BB0_347 Depth=2
	s_or_b64 exec, exec, s[44:45]
.LBB0_393:                              ;   in Loop: Header=BB0_347 Depth=2
	s_or_b64 exec, exec, s[16:17]
	v_lshrrev_b16_e32 v10, 8, v40
	v_cmp_ne_u16_e32 vcc, 0, v10
	s_and_saveexec_b64 s[16:17], vcc
	s_cbranch_execz .LBB0_399
; %bb.394:                              ;   in Loop: Header=BB0_347 Depth=2
	v_cmp_ne_u16_e32 vcc, s61, v10
	v_bfrev_b32_e32 v3, 1
	s_and_saveexec_b64 s[44:45], vcc
	s_cbranch_execz .LBB0_398
; %bb.395:                              ;   in Loop: Header=BB0_347 Depth=2
	v_and_b32_e32 v11, 0x7f, v10
	v_cmp_ne_u32_e32 vcc, s62, v11
	v_mov_b32_e32 v3, 0x7f800001
	s_and_saveexec_b64 s[46:47], vcc
	s_cbranch_execz .LBB0_397
; %bb.396:                              ;   in Loop: Header=BB0_347 Depth=2
	v_and_b32_e32 v3, 7, v10
	v_ffbh_u32_e32 v23, v3
	v_min_u32_e32 v23, 32, v23
	v_subrev_u32_e32 v27, 28, v23
	v_lshlrev_b64 v[48:49], v27, v[10:11]
	v_lshrrev_b32_e32 v22, 3, v11
	v_sub_u32_e32 v10, 29, v23
	v_and_b32_e32 v23, 7, v48
	v_cmp_gt_u32_e32 vcc, 8, v11
	v_cndmask_b32_e32 v10, v22, v10, vcc
	v_cndmask_b32_e32 v3, v3, v23, vcc
	v_lshlrev_b32_e32 v11, 16, v40
	v_lshlrev_b32_e32 v3, 20, v3
	v_and_b32_e32 v11, 0x80000000, v11
	v_lshl_add_u32 v10, v10, 23, v46
	v_or3_b32 v3, v11, v10, v3
.LBB0_397:                              ;   in Loop: Header=BB0_347 Depth=2
	s_or_b64 exec, exec, s[46:47]
.LBB0_398:                              ;   in Loop: Header=BB0_347 Depth=2
	s_or_b64 exec, exec, s[44:45]
.LBB0_399:                              ;   in Loop: Header=BB0_347 Depth=2
	s_or_b64 exec, exec, s[16:17]
	v_mul_f32_e32 v27, v9, v3
	v_and_b32_sdwa v3, v27, s61 dst_sel:DWORD dst_unused:UNUSED_PAD src0_sel:BYTE_3 src1_sel:DWORD
	v_and_b32_e32 v48, 0x7f800000, v27
	v_mov_b32_e32 v49, v41
	v_and_b32_e32 v10, 0x7fffff, v27
	v_mov_b32_e32 v11, v41
	v_or_b32_e32 v9, 0x7e, v3
	v_cmp_ne_u64_e32 vcc, s[36:37], v[48:49]
	s_and_saveexec_b64 s[16:17], vcc
	s_xor_b64 s[44:45], exec, s[16:17]
	s_cbranch_execz .LBB0_409
; %bb.400:                              ;   in Loop: Header=BB0_347 Depth=2
	v_and_b32_e32 v48, 0x7fffffff, v27
	v_mov_b32_e32 v49, v41
	v_cmp_gt_u64_e32 vcc, s[38:39], v[48:49]
	s_and_saveexec_b64 s[46:47], vcc
	s_cbranch_execz .LBB0_408
; %bb.401:                              ;   in Loop: Header=BB0_347 Depth=2
	v_cmp_ne_u32_e32 vcc, 0, v27
	v_mov_b32_e32 v9, 0
	s_and_saveexec_b64 s[48:49], vcc
	s_cbranch_execz .LBB0_407
; %bb.402:                              ;   in Loop: Header=BB0_347 Depth=2
	v_bfe_u32 v9, v27, 23, 8
	v_sub_u32_e32 v23, 0x79, v9
	v_cmp_gt_u32_e32 vcc, s63, v9
	v_add_u32_e32 v22, 0xffffff81, v9
	v_cndmask_b32_e32 v23, 0, v23, vcc
	v_cmp_eq_u32_e32 vcc, 0, v9
	v_cndmask_b32_e32 v9, v22, v47, vcc
	v_cndmask_b32_e32 v22, v23, v30, vcc
	v_add_u32_e32 v23, 20, v22
	v_or_b32_e32 v27, 0x800000, v10
	v_lshlrev_b64 v[48:49], v23, -1
	v_cndmask_b32_e32 v10, v27, v10, vcc
	v_not_b32_e32 v23, v49
	v_not_b32_e32 v27, v48
	v_and_b32_e32 v49, 0, v23
	v_and_b32_e32 v48, v10, v27
	v_add_u32_e32 v23, 19, v22
	v_lshrrev_b64 v[10:11], v22, v[10:11]
	v_lshlrev_b64 v[54:55], v23, 1
	v_lshrrev_b32_e32 v23, 23, v10
	v_add3_u32 v33, v22, v9, v23
	v_bfe_u32 v9, v10, 20, 1
	v_add_u32_e32 v9, -1, v9
	v_cmp_eq_u64_e32 vcc, v[48:49], v[54:55]
	v_cndmask_b32_e32 v9, 0, v9, vcc
	v_add_u32_e32 v9, v9, v10
	v_and_b32_e32 v9, 0xfffff, v9
	v_add_co_u32_e32 v10, vcc, v9, v10
	v_add_u32_e32 v27, 6, v33
	v_addc_co_u32_e32 v11, vcc, 0, v11, vcc
	v_cmp_ne_u32_e32 vcc, 0, v27
                                        ; implicit-def: $vgpr9
	s_and_saveexec_b64 s[16:17], vcc
	s_xor_b64 s[16:17], exec, s[16:17]
; %bb.403:                              ;   in Loop: Header=BB0_347 Depth=2
	v_cmp_lt_u64_e32 vcc, s[40:41], v[10:11]
	v_add_u32_e32 v9, 7, v33
	v_cndmask_b32_e64 v22, 0, 1, vcc
	v_cndmask_b32_e32 v9, v27, v9, vcc
	v_lshrrev_b64 v[10:11], v22, v[10:11]
; %bb.404:                              ;   in Loop: Header=BB0_347 Depth=2
	s_andn2_saveexec_b64 s[16:17], s[16:17]
; %bb.405:                              ;   in Loop: Header=BB0_347 Depth=2
	v_bfe_u32 v9, v10, 23, 1
; %bb.406:                              ;   in Loop: Header=BB0_347 Depth=2
	s_or_b64 exec, exec, s[16:17]
	v_lshrrev_b64 v[10:11], 20, v[10:11]
	v_cmp_gt_i32_e32 vcc, 16, v9
	v_cndmask_b32_e32 v11, 0, v11, vcc
	v_cndmask_b32_e32 v10, 7, v10, vcc
	v_cmp_eq_u32_e32 vcc, 0, v9
	v_min_i32_e32 v9, 15, v9
	v_cmp_eq_u64_e64 s[16:17], 0, v[10:11]
	v_lshlrev_b32_e32 v9, 3, v9
	v_and_or_b32 v9, v10, 7, v9
	s_and_b64 s[16:17], vcc, s[16:17]
	v_cndmask_b32_e64 v9, v9, 0, s[16:17]
	v_accvgpr_read_b32 v37, a9
	v_accvgpr_read_b32 v55, a41
	v_or_b32_e32 v9, v9, v3
	v_accvgpr_read_b32 v36, a8
	v_accvgpr_read_b32 v54, a40
.LBB0_407:                              ;   in Loop: Header=BB0_347 Depth=2
	s_or_b64 exec, exec, s[48:49]
.LBB0_408:                              ;   in Loop: Header=BB0_347 Depth=2
	s_or_b64 exec, exec, s[46:47]
                                        ; implicit-def: $vgpr27
                                        ; implicit-def: $vgpr10_vgpr11
.LBB0_409:                              ;   in Loop: Header=BB0_347 Depth=2
	s_andn2_saveexec_b64 s[16:17], s[44:45]
; %bb.410:                              ;   in Loop: Header=BB0_347 Depth=2
	v_or_b32_sdwa v3, v27, s62 dst_sel:DWORD dst_unused:UNUSED_PAD src0_sel:BYTE_3 src1_sel:DWORD
	v_cmp_eq_u64_e32 vcc, 0, v[10:11]
	v_cndmask_b32_e32 v9, v3, v9, vcc
; %bb.411:                              ;   in Loop: Header=BB0_347 Depth=2
	s_or_b64 exec, exec, s[16:17]
	v_lshrrev_b32_e32 v10, 16, v2
	v_cmp_ne_u16_sdwa vcc, v10, v41 src0_sel:BYTE_0 src1_sel:DWORD
	v_mov_b32_e32 v3, 0
	v_mov_b32_e32 v11, 0
	s_and_saveexec_b64 s[16:17], vcc
	s_cbranch_execz .LBB0_417
; %bb.412:                              ;   in Loop: Header=BB0_347 Depth=2
	v_cmp_ne_u16_sdwa vcc, v10, s61 src0_sel:BYTE_0 src1_sel:DWORD
	v_bfrev_b32_e32 v11, 1
	s_and_saveexec_b64 s[44:45], vcc
	s_cbranch_execz .LBB0_416
; %bb.413:                              ;   in Loop: Header=BB0_347 Depth=2
	v_bfe_u32 v27, v2, 16, 7
	v_cmp_ne_u32_e32 vcc, s62, v27
	v_mov_b32_e32 v11, 0x7f800001
	s_and_saveexec_b64 s[46:47], vcc
	s_cbranch_execz .LBB0_415
; %bb.414:                              ;   in Loop: Header=BB0_347 Depth=2
	v_and_b32_e32 v11, 7, v10
	v_ffbh_u32_e32 v23, v11
	v_min_u32_e32 v23, 32, v23
	v_subrev_u32_e32 v33, 28, v23
	v_lshlrev_b64 v[48:49], v33, v[10:11]
	v_lshrrev_b32_e32 v22, 3, v27
	v_sub_u32_e32 v23, 29, v23
	v_and_b32_e32 v33, 7, v48
	v_cmp_gt_u32_e32 vcc, 8, v27
	v_cndmask_b32_e32 v22, v22, v23, vcc
	v_cndmask_b32_e32 v11, v11, v33, vcc
	v_lshlrev_b32_e32 v10, 24, v10
	v_lshlrev_b32_e32 v11, 20, v11
	v_and_b32_e32 v10, 0x80000000, v10
	v_lshl_add_u32 v22, v22, 23, v46
	v_or3_b32 v11, v10, v22, v11
.LBB0_415:                              ;   in Loop: Header=BB0_347 Depth=2
	s_or_b64 exec, exec, s[46:47]
.LBB0_416:                              ;   in Loop: Header=BB0_347 Depth=2
	s_or_b64 exec, exec, s[44:45]
.LBB0_417:                              ;   in Loop: Header=BB0_347 Depth=2
	s_or_b64 exec, exec, s[16:17]
	v_and_b32_sdwa v27, v40, s60 dst_sel:DWORD dst_unused:UNUSED_PAD src0_sel:WORD_1 src1_sel:DWORD
	v_lshrrev_b32_e32 v10, 16, v40
	v_cmp_ne_u16_e32 vcc, 0, v27
	s_and_saveexec_b64 s[16:17], vcc
	s_cbranch_execz .LBB0_423
; %bb.418:                              ;   in Loop: Header=BB0_347 Depth=2
	v_cmp_ne_u16_e32 vcc, s61, v27
	v_bfrev_b32_e32 v3, 1
	s_and_saveexec_b64 s[44:45], vcc
	s_cbranch_execz .LBB0_422
; %bb.419:                              ;   in Loop: Header=BB0_347 Depth=2
	v_bfe_u32 v27, v40, 16, 7
	v_cmp_ne_u32_e32 vcc, s62, v27
	v_mov_b32_e32 v3, 0x7f800001
	s_and_saveexec_b64 s[46:47], vcc
	s_cbranch_execz .LBB0_421
; %bb.420:                              ;   in Loop: Header=BB0_347 Depth=2
	v_and_b32_e32 v3, 7, v10
	v_ffbh_u32_e32 v23, v3
	v_min_u32_e32 v23, 32, v23
	v_subrev_u32_e32 v33, 28, v23
	v_lshlrev_b64 v[48:49], v33, v[10:11]
	v_lshrrev_b32_e32 v22, 3, v27
	v_sub_u32_e32 v10, 29, v23
	v_and_b32_e32 v23, 7, v48
	v_cmp_gt_u32_e32 vcc, 8, v27
	v_cndmask_b32_e32 v10, v22, v10, vcc
	v_cndmask_b32_e32 v3, v3, v23, vcc
	v_lshlrev_b32_e32 v22, 8, v40
	v_lshlrev_b32_e32 v3, 20, v3
	v_and_b32_e32 v22, 0x80000000, v22
	v_lshl_add_u32 v10, v10, 23, v46
	v_or3_b32 v3, v22, v10, v3
.LBB0_421:                              ;   in Loop: Header=BB0_347 Depth=2
	s_or_b64 exec, exec, s[46:47]
.LBB0_422:                              ;   in Loop: Header=BB0_347 Depth=2
	s_or_b64 exec, exec, s[44:45]
.LBB0_423:                              ;   in Loop: Header=BB0_347 Depth=2
	s_or_b64 exec, exec, s[16:17]
	v_mul_f32_e32 v33, v11, v3
	v_and_b32_sdwa v3, v33, s61 dst_sel:DWORD dst_unused:UNUSED_PAD src0_sel:BYTE_3 src1_sel:DWORD
	v_and_b32_e32 v48, 0x7f800000, v33
	v_mov_b32_e32 v49, v41
	v_and_b32_e32 v10, 0x7fffff, v33
	v_mov_b32_e32 v11, v41
	v_or_b32_e32 v27, 0x7e, v3
	v_cmp_ne_u64_e32 vcc, s[36:37], v[48:49]
	s_and_saveexec_b64 s[16:17], vcc
	s_xor_b64 s[44:45], exec, s[16:17]
	s_cbranch_execz .LBB0_433
; %bb.424:                              ;   in Loop: Header=BB0_347 Depth=2
	v_and_b32_e32 v48, 0x7fffffff, v33
	v_mov_b32_e32 v49, v41
	v_cmp_gt_u64_e32 vcc, s[38:39], v[48:49]
	s_and_saveexec_b64 s[46:47], vcc
	s_cbranch_execz .LBB0_432
; %bb.425:                              ;   in Loop: Header=BB0_347 Depth=2
	v_cmp_ne_u32_e32 vcc, 0, v33
	v_mov_b32_e32 v27, 0
	s_and_saveexec_b64 s[48:49], vcc
	s_cbranch_execz .LBB0_431
; %bb.426:                              ;   in Loop: Header=BB0_347 Depth=2
	v_bfe_u32 v22, v33, 23, 8
	v_sub_u32_e32 v27, 0x79, v22
	v_cmp_gt_u32_e32 vcc, s63, v22
	v_add_u32_e32 v23, 0xffffff81, v22
	v_cndmask_b32_e32 v27, 0, v27, vcc
	v_cmp_eq_u32_e32 vcc, 0, v22
	v_cndmask_b32_e32 v22, v23, v47, vcc
	v_cndmask_b32_e32 v23, v27, v30, vcc
	v_add_u32_e32 v27, 20, v23
	v_or_b32_e32 v33, 0x800000, v10
	v_lshlrev_b64 v[48:49], v27, -1
	v_cndmask_b32_e32 v10, v33, v10, vcc
	v_not_b32_e32 v27, v49
	v_not_b32_e32 v33, v48
	v_and_b32_e32 v55, 0, v27
	v_and_b32_e32 v54, v10, v33
	v_add_u32_e32 v27, 19, v23
	v_lshrrev_b64 v[10:11], v23, v[10:11]
	v_lshlrev_b64 v[60:61], v27, 1
	v_lshrrev_b32_e32 v27, 23, v10
	v_add3_u32 v48, v23, v22, v27
	v_bfe_u32 v22, v10, 20, 1
	v_add_u32_e32 v22, -1, v22
	v_cmp_eq_u64_e32 vcc, v[54:55], v[60:61]
	v_cndmask_b32_e32 v22, 0, v22, vcc
	v_add_u32_e32 v22, v22, v10
	v_and_b32_e32 v22, 0xfffff, v22
	v_add_co_u32_e32 v10, vcc, v22, v10
	v_add_u32_e32 v33, 6, v48
	v_addc_co_u32_e32 v11, vcc, 0, v11, vcc
	v_cmp_ne_u32_e32 vcc, 0, v33
                                        ; implicit-def: $vgpr27
	s_and_saveexec_b64 s[16:17], vcc
	s_xor_b64 s[16:17], exec, s[16:17]
; %bb.427:                              ;   in Loop: Header=BB0_347 Depth=2
	v_add_u32_e32 v22, 7, v48
	v_cmp_lt_u64_e32 vcc, s[40:41], v[10:11]
	v_cndmask_b32_e32 v27, v33, v22, vcc
	v_cndmask_b32_e64 v22, 0, 1, vcc
	v_lshrrev_b64 v[10:11], v22, v[10:11]
; %bb.428:                              ;   in Loop: Header=BB0_347 Depth=2
	s_andn2_saveexec_b64 s[16:17], s[16:17]
; %bb.429:                              ;   in Loop: Header=BB0_347 Depth=2
	v_bfe_u32 v27, v10, 23, 1
; %bb.430:                              ;   in Loop: Header=BB0_347 Depth=2
	s_or_b64 exec, exec, s[16:17]
	v_lshrrev_b64 v[10:11], 20, v[10:11]
	v_cmp_gt_i32_e32 vcc, 16, v27
	v_cndmask_b32_e32 v11, 0, v11, vcc
	v_cndmask_b32_e32 v10, 7, v10, vcc
	v_cmp_eq_u64_e64 s[16:17], 0, v[10:11]
	v_min_i32_e32 v11, 15, v27
	v_cmp_eq_u32_e32 vcc, 0, v27
	v_lshlrev_b32_e32 v11, 3, v11
	v_and_or_b32 v10, v10, 7, v11
	s_and_b64 s[16:17], vcc, s[16:17]
	v_cndmask_b32_e64 v10, v10, 0, s[16:17]
	v_accvgpr_read_b32 v37, a9
	v_accvgpr_read_b32 v55, a41
	v_or_b32_e32 v27, v10, v3
	v_accvgpr_read_b32 v36, a8
	v_accvgpr_read_b32 v54, a40
.LBB0_431:                              ;   in Loop: Header=BB0_347 Depth=2
	s_or_b64 exec, exec, s[48:49]
.LBB0_432:                              ;   in Loop: Header=BB0_347 Depth=2
	s_or_b64 exec, exec, s[46:47]
                                        ; implicit-def: $vgpr33
                                        ; implicit-def: $vgpr10_vgpr11
.LBB0_433:                              ;   in Loop: Header=BB0_347 Depth=2
	s_andn2_saveexec_b64 s[16:17], s[44:45]
; %bb.434:                              ;   in Loop: Header=BB0_347 Depth=2
	v_or_b32_sdwa v3, v33, s62 dst_sel:DWORD dst_unused:UNUSED_PAD src0_sel:BYTE_3 src1_sel:DWORD
	v_cmp_eq_u64_e32 vcc, 0, v[10:11]
	v_cndmask_b32_e32 v27, v3, v27, vcc
; %bb.435:                              ;   in Loop: Header=BB0_347 Depth=2
	s_or_b64 exec, exec, s[16:17]
	v_cmp_lt_u32_e32 vcc, s64, v2
	v_mov_b32_e32 v3, 0
	v_mov_b32_e32 v11, 0
	s_and_saveexec_b64 s[16:17], vcc
	s_cbranch_execz .LBB0_441
; %bb.436:                              ;   in Loop: Header=BB0_347 Depth=2
	v_lshrrev_b32_e32 v10, 24, v2
	v_cmp_ne_u32_e32 vcc, s61, v10
	v_bfrev_b32_e32 v11, 1
	s_and_saveexec_b64 s[44:45], vcc
	s_cbranch_execz .LBB0_440
; %bb.437:                              ;   in Loop: Header=BB0_347 Depth=2
	v_bfe_u32 v2, v2, 24, 7
	v_cmp_ne_u32_e32 vcc, s62, v2
	v_mov_b32_e32 v11, 0x7f800001
	s_and_saveexec_b64 s[46:47], vcc
	s_cbranch_execz .LBB0_439
; %bb.438:                              ;   in Loop: Header=BB0_347 Depth=2
	v_and_b32_e32 v11, 7, v10
	v_ffbh_u32_e32 v23, v11
	v_min_u32_e32 v23, 32, v23
	v_subrev_u32_e32 v33, 28, v23
	v_lshlrev_b64 v[48:49], v33, v[10:11]
	v_lshrrev_b32_e32 v22, 3, v2
	v_sub_u32_e32 v23, 29, v23
	v_and_b32_e32 v33, 7, v48
	v_cmp_gt_u32_e32 vcc, 8, v2
	v_cndmask_b32_e32 v2, v22, v23, vcc
	v_cndmask_b32_e32 v11, v11, v33, vcc
	v_lshlrev_b32_e32 v10, 24, v10
	v_lshlrev_b32_e32 v11, 20, v11
	v_and_b32_e32 v10, 0x80000000, v10
	v_lshl_add_u32 v2, v2, 23, v46
	v_or3_b32 v11, v10, v2, v11
.LBB0_439:                              ;   in Loop: Header=BB0_347 Depth=2
	s_or_b64 exec, exec, s[46:47]
.LBB0_440:                              ;   in Loop: Header=BB0_347 Depth=2
	s_or_b64 exec, exec, s[44:45]
.LBB0_441:                              ;   in Loop: Header=BB0_347 Depth=2
	s_or_b64 exec, exec, s[16:17]
	v_cmp_lt_u32_e32 vcc, s64, v40
	s_and_saveexec_b64 s[16:17], vcc
	s_cbranch_execz .LBB0_447
; %bb.442:                              ;   in Loop: Header=BB0_347 Depth=2
	v_lshrrev_b32_e32 v2, 24, v40
	v_cmp_ne_u32_sdwa vcc, v40, s61 src0_sel:BYTE_3 src1_sel:DWORD
	v_bfrev_b32_e32 v3, 1
	s_and_saveexec_b64 s[44:45], vcc
	s_cbranch_execz .LBB0_446
; %bb.443:                              ;   in Loop: Header=BB0_347 Depth=2
	v_bfe_u32 v10, v40, 24, 7
	v_cmp_ne_u32_e32 vcc, s62, v10
	v_mov_b32_e32 v3, 0x7f800001
	s_and_saveexec_b64 s[46:47], vcc
	s_cbranch_execz .LBB0_445
; %bb.444:                              ;   in Loop: Header=BB0_347 Depth=2
	v_and_b32_e32 v22, 7, v2
	v_ffbh_u32_e32 v3, v22
	v_min_u32_e32 v33, 32, v3
	v_subrev_u32_e32 v3, 28, v33
	v_lshlrev_b64 v[2:3], v3, v[2:3]
	v_lshrrev_b32_e32 v23, 3, v10
	v_sub_u32_e32 v3, 29, v33
	v_and_b32_e32 v2, 7, v2
	v_cmp_gt_u32_e32 vcc, 8, v10
	v_cndmask_b32_e32 v3, v23, v3, vcc
	v_cndmask_b32_e32 v2, v22, v2, vcc
	v_lshlrev_b32_sdwa v10, v6, v40 dst_sel:DWORD dst_unused:UNUSED_PAD src0_sel:DWORD src1_sel:BYTE_3
	v_lshlrev_b32_e32 v2, 20, v2
	v_and_b32_e32 v10, 0x80000000, v10
	v_lshl_add_u32 v3, v3, 23, v46
	v_or3_b32 v3, v10, v3, v2
.LBB0_445:                              ;   in Loop: Header=BB0_347 Depth=2
	s_or_b64 exec, exec, s[46:47]
.LBB0_446:                              ;   in Loop: Header=BB0_347 Depth=2
	s_or_b64 exec, exec, s[44:45]
.LBB0_447:                              ;   in Loop: Header=BB0_347 Depth=2
	s_or_b64 exec, exec, s[16:17]
	v_mul_f32_e32 v2, v11, v3
	v_and_b32_sdwa v11, v2, s61 dst_sel:DWORD dst_unused:UNUSED_PAD src0_sel:BYTE_3 src1_sel:DWORD
	v_and_b32_e32 v48, 0x7f800000, v2
	v_mov_b32_e32 v49, v41
	v_and_b32_e32 v40, 0x7fffff, v2
	v_or_b32_e32 v10, 0x7e, v11
	v_cmp_ne_u64_e32 vcc, s[36:37], v[48:49]
	s_and_saveexec_b64 s[16:17], vcc
	s_xor_b64 s[44:45], exec, s[16:17]
	s_cbranch_execz .LBB0_457
; %bb.448:                              ;   in Loop: Header=BB0_347 Depth=2
	v_and_b32_e32 v48, 0x7fffffff, v2
	v_mov_b32_e32 v49, v41
	v_cmp_gt_u64_e32 vcc, s[38:39], v[48:49]
	s_and_saveexec_b64 s[46:47], vcc
	s_cbranch_execz .LBB0_456
; %bb.449:                              ;   in Loop: Header=BB0_347 Depth=2
	v_cmp_ne_u32_e32 vcc, 0, v2
	v_mov_b32_e32 v10, 0
	s_and_saveexec_b64 s[48:49], vcc
	s_cbranch_execz .LBB0_455
; %bb.450:                              ;   in Loop: Header=BB0_347 Depth=2
	v_bfe_u32 v2, v2, 23, 8
	v_sub_u32_e32 v10, 0x79, v2
	v_cmp_gt_u32_e32 vcc, s63, v2
	v_cndmask_b32_e32 v10, 0, v10, vcc
	v_cmp_eq_u32_e32 vcc, 0, v2
	v_or_b32_e32 v22, 0x800000, v40
	v_cndmask_b32_e32 v10, v10, v30, vcc
	v_add_u32_e32 v3, 0xffffff81, v2
	v_cndmask_b32_e32 v40, v22, v40, vcc
	v_add_u32_e32 v2, 20, v10
	v_cndmask_b32_e32 v23, v3, v47, vcc
	v_lshlrev_b64 v[2:3], v2, -1
	v_add_u32_e32 v22, 19, v10
	v_lshrrev_b64 v[60:61], v10, v[40:41]
	v_not_b32_e32 v3, v3
	v_not_b32_e32 v2, v2
	v_lshlrev_b64 v[54:55], v22, 1
	v_lshrrev_b32_e32 v22, 23, v60
	v_and_b32_e32 v3, 0, v3
	v_and_b32_e32 v2, v40, v2
	v_add3_u32 v48, v10, v23, v22
	v_bfe_u32 v10, v60, 20, 1
	v_add_u32_e32 v10, -1, v10
	v_cmp_eq_u64_e32 vcc, v[2:3], v[54:55]
	v_cndmask_b32_e32 v2, 0, v10, vcc
	v_add_u32_e32 v2, v2, v60
	v_and_b32_e32 v2, 0xfffff, v2
	v_add_co_u32_e32 v2, vcc, v2, v60
	v_add_u32_e32 v33, 6, v48
	v_addc_co_u32_e32 v3, vcc, 0, v61, vcc
	v_cmp_ne_u32_e32 vcc, 0, v33
                                        ; implicit-def: $vgpr10
	s_and_saveexec_b64 s[16:17], vcc
	s_xor_b64 s[16:17], exec, s[16:17]
; %bb.451:                              ;   in Loop: Header=BB0_347 Depth=2
	v_cmp_lt_u64_e32 vcc, s[40:41], v[2:3]
	v_add_u32_e32 v10, 7, v48
	v_cndmask_b32_e64 v22, 0, 1, vcc
	v_cndmask_b32_e32 v10, v33, v10, vcc
	v_lshrrev_b64 v[2:3], v22, v[2:3]
; %bb.452:                              ;   in Loop: Header=BB0_347 Depth=2
	s_andn2_saveexec_b64 s[16:17], s[16:17]
; %bb.453:                              ;   in Loop: Header=BB0_347 Depth=2
	v_bfe_u32 v10, v2, 23, 1
; %bb.454:                              ;   in Loop: Header=BB0_347 Depth=2
	s_or_b64 exec, exec, s[16:17]
	v_lshrrev_b64 v[2:3], 20, v[2:3]
	v_cmp_gt_i32_e32 vcc, 16, v10
	v_cndmask_b32_e32 v3, 0, v3, vcc
	v_cndmask_b32_e32 v2, 7, v2, vcc
	v_cmp_eq_u64_e64 s[16:17], 0, v[2:3]
	v_min_i32_e32 v3, 15, v10
	v_cmp_eq_u32_e32 vcc, 0, v10
	v_lshlrev_b32_e32 v3, 3, v3
	v_and_or_b32 v2, v2, 7, v3
	s_and_b64 s[16:17], vcc, s[16:17]
	v_cndmask_b32_e64 v2, v2, 0, s[16:17]
	v_accvgpr_read_b32 v37, a9
	v_accvgpr_read_b32 v55, a41
	v_or_b32_e32 v10, v2, v11
	v_accvgpr_read_b32 v36, a8
	v_accvgpr_read_b32 v54, a40
.LBB0_455:                              ;   in Loop: Header=BB0_347 Depth=2
	s_or_b64 exec, exec, s[48:49]
.LBB0_456:                              ;   in Loop: Header=BB0_347 Depth=2
	s_or_b64 exec, exec, s[46:47]
                                        ; implicit-def: $vgpr2
.LBB0_457:                              ;   in Loop: Header=BB0_347 Depth=2
	s_andn2_saveexec_b64 s[16:17], s[44:45]
; %bb.458:                              ;   in Loop: Header=BB0_347 Depth=2
	v_or_b32_sdwa v2, v2, s62 dst_sel:DWORD dst_unused:UNUSED_PAD src0_sel:BYTE_3 src1_sel:DWORD
	v_cmp_eq_u64_e32 vcc, 0, v[40:41]
	v_cndmask_b32_e32 v10, v2, v10, vcc
; %bb.459:                              ;   in Loop: Header=BB0_347 Depth=2
	s_or_b64 exec, exec, s[16:17]
	v_cmp_ne_u16_sdwa vcc, v4, v41 src0_sel:BYTE_0 src1_sel:DWORD
	v_mov_b32_e32 v2, 0
	v_mov_b32_e32 v3, 0
	s_and_saveexec_b64 s[16:17], vcc
	s_cbranch_execz .LBB0_465
; %bb.460:                              ;   in Loop: Header=BB0_347 Depth=2
	v_cmp_ne_u16_sdwa vcc, v4, s61 src0_sel:BYTE_0 src1_sel:DWORD
	v_bfrev_b32_e32 v3, 1
	s_and_saveexec_b64 s[44:45], vcc
	s_cbranch_execz .LBB0_464
; %bb.461:                              ;   in Loop: Header=BB0_347 Depth=2
	v_and_b32_e32 v11, 0x7f, v4
	v_cmp_ne_u32_e32 vcc, s62, v11
	v_mov_b32_e32 v3, 0x7f800001
	s_and_saveexec_b64 s[46:47], vcc
	s_cbranch_execz .LBB0_463
; %bb.462:                              ;   in Loop: Header=BB0_347 Depth=2
	v_and_b32_e32 v3, 7, v4
	v_ffbh_u32_e32 v3, v3
	v_min_u32_e32 v3, 32, v3
	v_subrev_u32_e32 v23, 28, v3
	v_cmp_gt_u32_e32 vcc, 8, v11
	v_lshrrev_b32_e32 v22, 3, v11
	v_cndmask_b32_e32 v11, 0, v23, vcc
	v_sub_u32_e32 v3, 29, v3
	v_lshlrev_b64 v[48:49], v11, v[4:5]
	v_cndmask_b32_e32 v3, v22, v3, vcc
	v_lshlrev_b32_e32 v5, 20, v48
	v_lshlrev_b32_e32 v11, 24, v4
	v_and_b32_e32 v5, 0x700000, v5
	v_and_b32_e32 v11, 0x80000000, v11
	v_lshl_add_u32 v3, v3, 23, v46
	v_or3_b32 v3, v11, v3, v5
.LBB0_463:                              ;   in Loop: Header=BB0_347 Depth=2
	s_or_b64 exec, exec, s[46:47]
.LBB0_464:                              ;   in Loop: Header=BB0_347 Depth=2
	s_or_b64 exec, exec, s[44:45]
.LBB0_465:                              ;   in Loop: Header=BB0_347 Depth=2
	s_or_b64 exec, exec, s[16:17]
	v_alignbit_b32 v40, v29, v31, v32
	v_cmp_ne_u16_sdwa vcc, v40, v41 src0_sel:BYTE_0 src1_sel:DWORD
	s_and_saveexec_b64 s[16:17], vcc
	s_cbranch_execz .LBB0_471
; %bb.466:                              ;   in Loop: Header=BB0_347 Depth=2
	v_cmp_ne_u16_sdwa vcc, v40, s61 src0_sel:BYTE_0 src1_sel:DWORD
	v_bfrev_b32_e32 v2, 1
	s_and_saveexec_b64 s[44:45], vcc
	s_cbranch_execz .LBB0_470
; %bb.467:                              ;   in Loop: Header=BB0_347 Depth=2
	v_and_b32_e32 v5, 0x7f, v40
	v_cmp_ne_u32_e32 vcc, s62, v5
	v_mov_b32_e32 v2, 0x7f800001
	s_and_saveexec_b64 s[46:47], vcc
	s_cbranch_execz .LBB0_469
; %bb.468:                              ;   in Loop: Header=BB0_347 Depth=2
	v_and_b32_e32 v2, 7, v40
	v_ffbh_u32_e32 v2, v2
	v_min_u32_e32 v2, 32, v2
	v_subrev_u32_e32 v22, 28, v2
	v_cmp_gt_u32_e32 vcc, 8, v5
	v_lshrrev_b32_e32 v11, 3, v5
	v_cndmask_b32_e32 v5, 0, v22, vcc
	v_sub_u32_e32 v2, 29, v2
	v_lshlrev_b64 v[32:33], v5, v[40:41]
	v_cndmask_b32_e32 v2, v11, v2, vcc
	v_lshlrev_b32_e32 v5, 20, v32
	v_lshlrev_b32_e32 v11, 24, v40
	v_and_b32_e32 v5, 0x700000, v5
	v_and_b32_e32 v11, 0x80000000, v11
	v_lshl_add_u32 v2, v2, 23, v46
	v_or3_b32 v2, v11, v2, v5
.LBB0_469:                              ;   in Loop: Header=BB0_347 Depth=2
	s_or_b64 exec, exec, s[46:47]
.LBB0_470:                              ;   in Loop: Header=BB0_347 Depth=2
	s_or_b64 exec, exec, s[44:45]
.LBB0_471:                              ;   in Loop: Header=BB0_347 Depth=2
	s_or_b64 exec, exec, s[16:17]
	v_mul_f32_e32 v29, v3, v2
	v_and_b32_sdwa v11, v29, s61 dst_sel:DWORD dst_unused:UNUSED_PAD src0_sel:BYTE_3 src1_sel:DWORD
	v_and_b32_e32 v32, 0x7f800000, v29
	v_mov_b32_e32 v33, v41
	v_and_b32_e32 v2, 0x7fffff, v29
	v_mov_b32_e32 v3, v41
	v_or_b32_e32 v5, 0x7e, v11
	v_cmp_ne_u64_e32 vcc, s[36:37], v[32:33]
	s_and_saveexec_b64 s[16:17], vcc
	s_xor_b64 s[44:45], exec, s[16:17]
	s_cbranch_execz .LBB0_481
; %bb.472:                              ;   in Loop: Header=BB0_347 Depth=2
	v_and_b32_e32 v32, 0x7fffffff, v29
	v_mov_b32_e32 v33, v41
	v_cmp_gt_u64_e32 vcc, s[38:39], v[32:33]
	s_and_saveexec_b64 s[46:47], vcc
	s_cbranch_execz .LBB0_480
; %bb.473:                              ;   in Loop: Header=BB0_347 Depth=2
	v_cmp_ne_u32_e32 vcc, 0, v29
	v_mov_b32_e32 v5, 0
	s_and_saveexec_b64 s[48:49], vcc
	s_cbranch_execz .LBB0_479
; %bb.474:                              ;   in Loop: Header=BB0_347 Depth=2
	v_bfe_u32 v5, v29, 23, 8
	v_sub_u32_e32 v23, 0x79, v5
	v_cmp_gt_u32_e32 vcc, s63, v5
	v_add_u32_e32 v22, 0xffffff81, v5
	v_cndmask_b32_e32 v23, 0, v23, vcc
	v_cmp_eq_u32_e32 vcc, 0, v5
	v_cndmask_b32_e32 v5, v22, v47, vcc
	v_cndmask_b32_e32 v22, v23, v30, vcc
	v_add_u32_e32 v23, 20, v22
	v_or_b32_e32 v29, 0x800000, v2
	v_lshlrev_b64 v[32:33], v23, -1
	v_cndmask_b32_e32 v2, v29, v2, vcc
	v_not_b32_e32 v23, v33
	v_not_b32_e32 v29, v32
	v_and_b32_e32 v33, 0, v23
	v_and_b32_e32 v32, v2, v29
	v_add_u32_e32 v23, 19, v22
	v_lshrrev_b64 v[2:3], v22, v[2:3]
	v_lshlrev_b64 v[48:49], v23, 1
	v_lshrrev_b32_e32 v23, 23, v2
	v_add3_u32 v31, v22, v5, v23
	v_bfe_u32 v5, v2, 20, 1
	v_add_u32_e32 v5, -1, v5
	v_cmp_eq_u64_e32 vcc, v[32:33], v[48:49]
	v_cndmask_b32_e32 v5, 0, v5, vcc
	v_add_u32_e32 v5, v5, v2
	v_and_b32_e32 v5, 0xfffff, v5
	v_add_co_u32_e32 v2, vcc, v5, v2
	v_add_u32_e32 v29, 6, v31
	v_addc_co_u32_e32 v3, vcc, 0, v3, vcc
	v_cmp_ne_u32_e32 vcc, 0, v29
                                        ; implicit-def: $vgpr5
	s_and_saveexec_b64 s[16:17], vcc
	s_xor_b64 s[16:17], exec, s[16:17]
; %bb.475:                              ;   in Loop: Header=BB0_347 Depth=2
	v_cmp_lt_u64_e32 vcc, s[40:41], v[2:3]
	v_add_u32_e32 v5, 7, v31
	v_cndmask_b32_e64 v22, 0, 1, vcc
	v_cndmask_b32_e32 v5, v29, v5, vcc
	v_lshrrev_b64 v[2:3], v22, v[2:3]
; %bb.476:                              ;   in Loop: Header=BB0_347 Depth=2
	s_andn2_saveexec_b64 s[16:17], s[16:17]
; %bb.477:                              ;   in Loop: Header=BB0_347 Depth=2
	v_bfe_u32 v5, v2, 23, 1
; %bb.478:                              ;   in Loop: Header=BB0_347 Depth=2
	s_or_b64 exec, exec, s[16:17]
	v_lshrrev_b64 v[2:3], 20, v[2:3]
	v_cmp_gt_i32_e32 vcc, 16, v5
	v_cndmask_b32_e32 v3, 0, v3, vcc
	v_cndmask_b32_e32 v2, 7, v2, vcc
	v_cmp_eq_u64_e64 s[16:17], 0, v[2:3]
	v_min_i32_e32 v3, 15, v5
	v_cmp_eq_u32_e32 vcc, 0, v5
	v_lshlrev_b32_e32 v3, 3, v3
	v_and_or_b32 v2, v2, 7, v3
	s_and_b64 s[16:17], vcc, s[16:17]
	v_cndmask_b32_e64 v2, v2, 0, s[16:17]
	v_or_b32_e32 v5, v2, v11
.LBB0_479:                              ;   in Loop: Header=BB0_347 Depth=2
	s_or_b64 exec, exec, s[48:49]
.LBB0_480:                              ;   in Loop: Header=BB0_347 Depth=2
	s_or_b64 exec, exec, s[46:47]
                                        ; implicit-def: $vgpr29
                                        ; implicit-def: $vgpr2_vgpr3
.LBB0_481:                              ;   in Loop: Header=BB0_347 Depth=2
	s_andn2_saveexec_b64 s[16:17], s[44:45]
; %bb.482:                              ;   in Loop: Header=BB0_347 Depth=2
	v_or_b32_sdwa v11, v29, s62 dst_sel:DWORD dst_unused:UNUSED_PAD src0_sel:BYTE_3 src1_sel:DWORD
	v_cmp_eq_u64_e32 vcc, 0, v[2:3]
	v_cndmask_b32_e32 v5, v11, v5, vcc
; %bb.483:                              ;   in Loop: Header=BB0_347 Depth=2
	s_or_b64 exec, exec, s[16:17]
	v_lshrrev_b16_e32 v2, 8, v4
	v_cmp_ne_u16_e32 vcc, 0, v2
	v_mov_b32_e32 v3, 0
	v_mov_b32_e32 v11, 0
	s_and_saveexec_b64 s[16:17], vcc
	s_cbranch_execz .LBB0_489
; %bb.484:                              ;   in Loop: Header=BB0_347 Depth=2
	v_cmp_ne_u16_e32 vcc, s61, v2
	v_bfrev_b32_e32 v11, 1
	s_and_saveexec_b64 s[44:45], vcc
	s_cbranch_execz .LBB0_488
; %bb.485:                              ;   in Loop: Header=BB0_347 Depth=2
	v_and_b32_e32 v29, 0x7f, v2
	v_cmp_ne_u32_e32 vcc, s62, v29
	v_mov_b32_e32 v11, 0x7f800001
	s_and_saveexec_b64 s[46:47], vcc
	s_cbranch_execz .LBB0_487
; %bb.486:                              ;   in Loop: Header=BB0_347 Depth=2
	v_and_b32_e32 v11, 7, v2
	v_ffbh_u32_e32 v23, v11
	v_min_u32_e32 v23, 32, v23
	v_subrev_u32_e32 v31, 28, v23
	v_lshlrev_b64 v[32:33], v31, v[2:3]
	v_lshrrev_b32_e32 v22, 3, v29
	v_sub_u32_e32 v2, 29, v23
	v_and_b32_e32 v23, 7, v32
	v_cmp_gt_u32_e32 vcc, 8, v29
	v_cndmask_b32_e32 v2, v22, v2, vcc
	v_cndmask_b32_e32 v11, v11, v23, vcc
	v_lshlrev_b32_e32 v22, 16, v4
	v_lshlrev_b32_e32 v11, 20, v11
	v_and_b32_e32 v22, 0x80000000, v22
	v_lshl_add_u32 v2, v2, 23, v46
	v_or3_b32 v11, v22, v2, v11
.LBB0_487:                              ;   in Loop: Header=BB0_347 Depth=2
	s_or_b64 exec, exec, s[46:47]
.LBB0_488:                              ;   in Loop: Header=BB0_347 Depth=2
	s_or_b64 exec, exec, s[44:45]
.LBB0_489:                              ;   in Loop: Header=BB0_347 Depth=2
	s_or_b64 exec, exec, s[16:17]
	v_lshrrev_b16_e32 v2, 8, v40
	v_cmp_ne_u16_e32 vcc, 0, v2
	s_and_saveexec_b64 s[16:17], vcc
	s_cbranch_execz .LBB0_495
; %bb.490:                              ;   in Loop: Header=BB0_347 Depth=2
	v_cmp_ne_u16_e32 vcc, s61, v2
	v_bfrev_b32_e32 v3, 1
	s_and_saveexec_b64 s[44:45], vcc
	s_cbranch_execz .LBB0_494
; %bb.491:                              ;   in Loop: Header=BB0_347 Depth=2
	v_and_b32_e32 v29, 0x7f, v2
	v_cmp_ne_u32_e32 vcc, s62, v29
	v_mov_b32_e32 v3, 0x7f800001
	s_and_saveexec_b64 s[46:47], vcc
	s_cbranch_execz .LBB0_493
; %bb.492:                              ;   in Loop: Header=BB0_347 Depth=2
	v_and_b32_e32 v22, 7, v2
	v_ffbh_u32_e32 v3, v22
	v_min_u32_e32 v31, 32, v3
	v_subrev_u32_e32 v3, 28, v31
	v_lshlrev_b64 v[2:3], v3, v[2:3]
	v_lshrrev_b32_e32 v23, 3, v29
	v_sub_u32_e32 v3, 29, v31
	v_and_b32_e32 v2, 7, v2
	v_cmp_gt_u32_e32 vcc, 8, v29
	v_cndmask_b32_e32 v3, v23, v3, vcc
	v_cndmask_b32_e32 v2, v22, v2, vcc
	v_lshlrev_b32_e32 v22, 16, v40
	v_lshlrev_b32_e32 v2, 20, v2
	v_and_b32_e32 v22, 0x80000000, v22
	v_lshl_add_u32 v3, v3, 23, v46
	v_or3_b32 v3, v22, v3, v2
.LBB0_493:                              ;   in Loop: Header=BB0_347 Depth=2
	s_or_b64 exec, exec, s[46:47]
.LBB0_494:                              ;   in Loop: Header=BB0_347 Depth=2
	s_or_b64 exec, exec, s[44:45]
.LBB0_495:                              ;   in Loop: Header=BB0_347 Depth=2
	s_or_b64 exec, exec, s[16:17]
	v_mul_f32_e32 v31, v11, v3
	v_and_b32_sdwa v29, v31, s61 dst_sel:DWORD dst_unused:UNUSED_PAD src0_sel:BYTE_3 src1_sel:DWORD
	v_and_b32_e32 v32, 0x7f800000, v31
	v_mov_b32_e32 v33, v41
	v_and_b32_e32 v2, 0x7fffff, v31
	v_mov_b32_e32 v3, v41
	v_or_b32_e32 v11, 0x7e, v29
	v_cmp_ne_u64_e32 vcc, s[36:37], v[32:33]
	s_and_saveexec_b64 s[16:17], vcc
	s_xor_b64 s[44:45], exec, s[16:17]
	s_cbranch_execz .LBB0_505
; %bb.496:                              ;   in Loop: Header=BB0_347 Depth=2
	v_and_b32_e32 v32, 0x7fffffff, v31
	v_mov_b32_e32 v33, v41
	v_cmp_gt_u64_e32 vcc, s[38:39], v[32:33]
	s_and_saveexec_b64 s[46:47], vcc
	s_cbranch_execz .LBB0_504
; %bb.497:                              ;   in Loop: Header=BB0_347 Depth=2
	v_cmp_ne_u32_e32 vcc, 0, v31
	v_mov_b32_e32 v11, 0
	s_and_saveexec_b64 s[48:49], vcc
	s_cbranch_execz .LBB0_503
; %bb.498:                              ;   in Loop: Header=BB0_347 Depth=2
	v_bfe_u32 v11, v31, 23, 8
	v_sub_u32_e32 v23, 0x79, v11
	v_cmp_gt_u32_e32 vcc, s63, v11
	v_add_u32_e32 v22, 0xffffff81, v11
	v_cndmask_b32_e32 v23, 0, v23, vcc
	v_cmp_eq_u32_e32 vcc, 0, v11
	v_cndmask_b32_e32 v11, v22, v47, vcc
	v_cndmask_b32_e32 v22, v23, v30, vcc
	v_add_u32_e32 v23, 20, v22
	v_or_b32_e32 v31, 0x800000, v2
	v_lshlrev_b64 v[32:33], v23, -1
	v_cndmask_b32_e32 v2, v31, v2, vcc
	v_not_b32_e32 v23, v33
	v_not_b32_e32 v31, v32
	v_and_b32_e32 v49, 0, v23
	v_and_b32_e32 v48, v2, v31
	v_add_u32_e32 v23, 19, v22
	v_lshrrev_b64 v[2:3], v22, v[2:3]
	v_lshlrev_b64 v[54:55], v23, 1
	v_lshrrev_b32_e32 v23, 23, v2
	v_add3_u32 v32, v22, v11, v23
	v_bfe_u32 v11, v2, 20, 1
	v_add_u32_e32 v11, -1, v11
	v_cmp_eq_u64_e32 vcc, v[48:49], v[54:55]
	v_cndmask_b32_e32 v11, 0, v11, vcc
	v_add_u32_e32 v11, v11, v2
	v_and_b32_e32 v11, 0xfffff, v11
	v_add_co_u32_e32 v2, vcc, v11, v2
	v_add_u32_e32 v31, 6, v32
	v_addc_co_u32_e32 v3, vcc, 0, v3, vcc
	v_cmp_ne_u32_e32 vcc, 0, v31
                                        ; implicit-def: $vgpr11
	s_and_saveexec_b64 s[16:17], vcc
	s_xor_b64 s[16:17], exec, s[16:17]
; %bb.499:                              ;   in Loop: Header=BB0_347 Depth=2
	v_cmp_lt_u64_e32 vcc, s[40:41], v[2:3]
	v_add_u32_e32 v11, 7, v32
	v_cndmask_b32_e64 v22, 0, 1, vcc
	v_cndmask_b32_e32 v11, v31, v11, vcc
	v_lshrrev_b64 v[2:3], v22, v[2:3]
; %bb.500:                              ;   in Loop: Header=BB0_347 Depth=2
	s_andn2_saveexec_b64 s[16:17], s[16:17]
; %bb.501:                              ;   in Loop: Header=BB0_347 Depth=2
	v_bfe_u32 v11, v2, 23, 1
; %bb.502:                              ;   in Loop: Header=BB0_347 Depth=2
	s_or_b64 exec, exec, s[16:17]
	v_lshrrev_b64 v[2:3], 20, v[2:3]
	v_cmp_gt_i32_e32 vcc, 16, v11
	v_cndmask_b32_e32 v3, 0, v3, vcc
	v_cndmask_b32_e32 v2, 7, v2, vcc
	v_cmp_eq_u64_e64 s[16:17], 0, v[2:3]
	v_min_i32_e32 v3, 15, v11
	v_cmp_eq_u32_e32 vcc, 0, v11
	v_lshlrev_b32_e32 v3, 3, v3
	v_and_or_b32 v2, v2, 7, v3
	s_and_b64 s[16:17], vcc, s[16:17]
	v_cndmask_b32_e64 v2, v2, 0, s[16:17]
	v_accvgpr_read_b32 v37, a9
	v_accvgpr_read_b32 v55, a41
	v_or_b32_e32 v11, v2, v29
	v_accvgpr_read_b32 v36, a8
	v_accvgpr_read_b32 v54, a40
.LBB0_503:                              ;   in Loop: Header=BB0_347 Depth=2
	s_or_b64 exec, exec, s[48:49]
.LBB0_504:                              ;   in Loop: Header=BB0_347 Depth=2
	s_or_b64 exec, exec, s[46:47]
                                        ; implicit-def: $vgpr31
                                        ; implicit-def: $vgpr2_vgpr3
.LBB0_505:                              ;   in Loop: Header=BB0_347 Depth=2
	s_andn2_saveexec_b64 s[16:17], s[44:45]
; %bb.506:                              ;   in Loop: Header=BB0_347 Depth=2
	v_or_b32_sdwa v22, v31, s62 dst_sel:DWORD dst_unused:UNUSED_PAD src0_sel:BYTE_3 src1_sel:DWORD
	v_cmp_eq_u64_e32 vcc, 0, v[2:3]
	v_cndmask_b32_e32 v11, v22, v11, vcc
; %bb.507:                              ;   in Loop: Header=BB0_347 Depth=2
	s_or_b64 exec, exec, s[16:17]
	v_lshrrev_b32_e32 v2, 16, v4
	v_cmp_ne_u16_sdwa vcc, v2, v41 src0_sel:BYTE_0 src1_sel:DWORD
	v_mov_b32_e32 v3, 0
	v_mov_b32_e32 v29, 0
	s_and_saveexec_b64 s[16:17], vcc
	s_cbranch_execz .LBB0_513
; %bb.508:                              ;   in Loop: Header=BB0_347 Depth=2
	v_cmp_ne_u16_sdwa vcc, v2, s61 src0_sel:BYTE_0 src1_sel:DWORD
	v_bfrev_b32_e32 v29, 1
	s_and_saveexec_b64 s[44:45], vcc
	s_cbranch_execz .LBB0_512
; %bb.509:                              ;   in Loop: Header=BB0_347 Depth=2
	v_bfe_u32 v31, v4, 16, 7
	v_cmp_ne_u32_e32 vcc, s62, v31
	v_mov_b32_e32 v29, 0x7f800001
	s_and_saveexec_b64 s[46:47], vcc
	s_cbranch_execz .LBB0_511
; %bb.510:                              ;   in Loop: Header=BB0_347 Depth=2
	v_and_b32_e32 v22, 7, v2
	v_ffbh_u32_e32 v29, v22
	v_min_u32_e32 v29, 32, v29
	v_subrev_u32_e32 v32, 28, v29
	v_lshlrev_b64 v[32:33], v32, v[2:3]
	v_lshrrev_b32_e32 v23, 3, v31
	v_sub_u32_e32 v29, 29, v29
	v_and_b32_e32 v32, 7, v32
	v_cmp_gt_u32_e32 vcc, 8, v31
	v_cndmask_b32_e32 v23, v23, v29, vcc
	v_cndmask_b32_e32 v22, v22, v32, vcc
	v_lshlrev_b32_e32 v2, 24, v2
	v_lshlrev_b32_e32 v22, 20, v22
	v_and_b32_e32 v2, 0x80000000, v2
	v_lshl_add_u32 v23, v23, 23, v46
	v_or3_b32 v29, v2, v23, v22
.LBB0_511:                              ;   in Loop: Header=BB0_347 Depth=2
	s_or_b64 exec, exec, s[46:47]
.LBB0_512:                              ;   in Loop: Header=BB0_347 Depth=2
	s_or_b64 exec, exec, s[44:45]
.LBB0_513:                              ;   in Loop: Header=BB0_347 Depth=2
	s_or_b64 exec, exec, s[16:17]
	v_and_b32_sdwa v31, v40, s60 dst_sel:DWORD dst_unused:UNUSED_PAD src0_sel:WORD_1 src1_sel:DWORD
	v_lshrrev_b32_e32 v2, 16, v40
	v_cmp_ne_u16_e32 vcc, 0, v31
	s_and_saveexec_b64 s[16:17], vcc
	s_cbranch_execz .LBB0_519
; %bb.514:                              ;   in Loop: Header=BB0_347 Depth=2
	v_cmp_ne_u16_e32 vcc, s61, v31
	v_bfrev_b32_e32 v3, 1
	s_and_saveexec_b64 s[44:45], vcc
	s_cbranch_execz .LBB0_518
; %bb.515:                              ;   in Loop: Header=BB0_347 Depth=2
	v_bfe_u32 v31, v40, 16, 7
	v_cmp_ne_u32_e32 vcc, s62, v31
	v_mov_b32_e32 v3, 0x7f800001
	s_and_saveexec_b64 s[46:47], vcc
	s_cbranch_execz .LBB0_517
; %bb.516:                              ;   in Loop: Header=BB0_347 Depth=2
	v_and_b32_e32 v22, 7, v2
	v_ffbh_u32_e32 v3, v22
	v_min_u32_e32 v32, 32, v3
	v_subrev_u32_e32 v3, 28, v32
	v_lshlrev_b64 v[2:3], v3, v[2:3]
	v_lshrrev_b32_e32 v23, 3, v31
	v_sub_u32_e32 v3, 29, v32
	v_and_b32_e32 v2, 7, v2
	v_cmp_gt_u32_e32 vcc, 8, v31
	v_cndmask_b32_e32 v3, v23, v3, vcc
	v_cndmask_b32_e32 v2, v22, v2, vcc
	v_lshlrev_b32_e32 v22, 8, v40
	v_lshlrev_b32_e32 v2, 20, v2
	v_and_b32_e32 v22, 0x80000000, v22
	v_lshl_add_u32 v3, v3, 23, v46
	v_or3_b32 v3, v22, v3, v2
.LBB0_517:                              ;   in Loop: Header=BB0_347 Depth=2
	s_or_b64 exec, exec, s[46:47]
.LBB0_518:                              ;   in Loop: Header=BB0_347 Depth=2
	s_or_b64 exec, exec, s[44:45]
.LBB0_519:                              ;   in Loop: Header=BB0_347 Depth=2
	s_or_b64 exec, exec, s[16:17]
	v_mul_f32_e32 v32, v29, v3
	v_and_b32_sdwa v31, v32, s61 dst_sel:DWORD dst_unused:UNUSED_PAD src0_sel:BYTE_3 src1_sel:DWORD
	v_and_b32_e32 v48, 0x7f800000, v32
	v_mov_b32_e32 v49, v41
	v_and_b32_e32 v2, 0x7fffff, v32
	v_mov_b32_e32 v3, v41
	v_or_b32_e32 v29, 0x7e, v31
	v_cmp_ne_u64_e32 vcc, s[36:37], v[48:49]
	s_and_saveexec_b64 s[16:17], vcc
	s_xor_b64 s[44:45], exec, s[16:17]
	s_cbranch_execz .LBB0_529
; %bb.520:                              ;   in Loop: Header=BB0_347 Depth=2
	v_and_b32_e32 v48, 0x7fffffff, v32
	v_mov_b32_e32 v49, v41
	v_cmp_gt_u64_e32 vcc, s[38:39], v[48:49]
	s_and_saveexec_b64 s[46:47], vcc
	s_cbranch_execz .LBB0_528
; %bb.521:                              ;   in Loop: Header=BB0_347 Depth=2
	v_cmp_ne_u32_e32 vcc, 0, v32
	v_mov_b32_e32 v29, 0
	s_and_saveexec_b64 s[48:49], vcc
	s_cbranch_execz .LBB0_527
; %bb.522:                              ;   in Loop: Header=BB0_347 Depth=2
	v_bfe_u32 v22, v32, 23, 8
	v_sub_u32_e32 v29, 0x79, v22
	v_cmp_gt_u32_e32 vcc, s63, v22
	v_add_u32_e32 v23, 0xffffff81, v22
	v_cndmask_b32_e32 v29, 0, v29, vcc
	v_cmp_eq_u32_e32 vcc, 0, v22
	v_cndmask_b32_e32 v22, v23, v47, vcc
	v_cndmask_b32_e32 v23, v29, v30, vcc
	v_or_b32_e32 v32, 0x800000, v2
	v_add_u32_e32 v29, 20, v23
	v_cndmask_b32_e32 v2, v32, v2, vcc
	v_lshlrev_b64 v[32:33], v29, -1
	v_not_b32_e32 v29, v33
	v_not_b32_e32 v32, v32
	v_and_b32_e32 v49, 0, v29
	v_and_b32_e32 v48, v2, v32
	v_add_u32_e32 v29, 19, v23
	v_lshrrev_b64 v[2:3], v23, v[2:3]
	v_lshlrev_b64 v[54:55], v29, 1
	v_lshrrev_b32_e32 v29, 23, v2
	v_add3_u32 v33, v23, v22, v29
	v_bfe_u32 v22, v2, 20, 1
	v_add_u32_e32 v22, -1, v22
	v_cmp_eq_u64_e32 vcc, v[48:49], v[54:55]
	v_cndmask_b32_e32 v22, 0, v22, vcc
	v_add_u32_e32 v22, v22, v2
	v_and_b32_e32 v22, 0xfffff, v22
	v_add_co_u32_e32 v2, vcc, v22, v2
	v_add_u32_e32 v32, 6, v33
	v_addc_co_u32_e32 v3, vcc, 0, v3, vcc
	v_cmp_ne_u32_e32 vcc, 0, v32
                                        ; implicit-def: $vgpr29
	s_and_saveexec_b64 s[16:17], vcc
	s_xor_b64 s[16:17], exec, s[16:17]
; %bb.523:                              ;   in Loop: Header=BB0_347 Depth=2
	v_add_u32_e32 v22, 7, v33
	v_cmp_lt_u64_e32 vcc, s[40:41], v[2:3]
	v_cndmask_b32_e32 v29, v32, v22, vcc
	v_cndmask_b32_e64 v22, 0, 1, vcc
	v_lshrrev_b64 v[2:3], v22, v[2:3]
; %bb.524:                              ;   in Loop: Header=BB0_347 Depth=2
	s_andn2_saveexec_b64 s[16:17], s[16:17]
; %bb.525:                              ;   in Loop: Header=BB0_347 Depth=2
	v_bfe_u32 v29, v2, 23, 1
; %bb.526:                              ;   in Loop: Header=BB0_347 Depth=2
	s_or_b64 exec, exec, s[16:17]
	v_lshrrev_b64 v[2:3], 20, v[2:3]
	v_cmp_gt_i32_e32 vcc, 16, v29
	v_cndmask_b32_e32 v3, 0, v3, vcc
	v_cndmask_b32_e32 v2, 7, v2, vcc
	v_cmp_eq_u64_e64 s[16:17], 0, v[2:3]
	v_min_i32_e32 v3, 15, v29
	v_lshlrev_b32_e32 v3, 3, v3
	v_cmp_eq_u32_e32 vcc, 0, v29
	v_and_b32_e32 v3, 0xf8, v3
	v_and_or_b32 v2, v2, 7, v3
	s_and_b64 s[16:17], vcc, s[16:17]
	v_cndmask_b32_e64 v2, v2, 0, s[16:17]
	v_accvgpr_read_b32 v37, a9
	v_accvgpr_read_b32 v55, a41
	v_or_b32_e32 v29, v2, v31
	v_accvgpr_read_b32 v36, a8
	v_accvgpr_read_b32 v54, a40
.LBB0_527:                              ;   in Loop: Header=BB0_347 Depth=2
	s_or_b64 exec, exec, s[48:49]
.LBB0_528:                              ;   in Loop: Header=BB0_347 Depth=2
	s_or_b64 exec, exec, s[46:47]
                                        ; implicit-def: $vgpr32
                                        ; implicit-def: $vgpr2_vgpr3
.LBB0_529:                              ;   in Loop: Header=BB0_347 Depth=2
	s_andn2_saveexec_b64 s[16:17], s[44:45]
; %bb.530:                              ;   in Loop: Header=BB0_347 Depth=2
	v_or_b32_sdwa v22, v32, s62 dst_sel:DWORD dst_unused:UNUSED_PAD src0_sel:BYTE_3 src1_sel:DWORD
	v_cmp_eq_u64_e32 vcc, 0, v[2:3]
	v_cndmask_b32_e32 v29, v22, v29, vcc
; %bb.531:                              ;   in Loop: Header=BB0_347 Depth=2
	s_or_b64 exec, exec, s[16:17]
	v_and_b32_e32 v2, 0xff000000, v4
	v_mov_b32_e32 v3, v41
	v_cmp_ne_u64_e32 vcc, 0, v[2:3]
	v_mov_b32_e32 v3, 0
	v_mov_b32_e32 v31, 0
	s_and_saveexec_b64 s[16:17], vcc
	s_cbranch_execz .LBB0_537
; %bb.532:                              ;   in Loop: Header=BB0_347 Depth=2
	v_lshrrev_b32_e32 v2, 24, v4
	v_cmp_ne_u32_e32 vcc, s61, v2
	v_bfrev_b32_e32 v31, 1
	s_and_saveexec_b64 s[44:45], vcc
	s_cbranch_execz .LBB0_536
; %bb.533:                              ;   in Loop: Header=BB0_347 Depth=2
	v_bfe_u32 v4, v4, 24, 7
	v_cmp_ne_u32_e32 vcc, s62, v4
	v_mov_b32_e32 v31, 0x7f800001
	s_and_saveexec_b64 s[46:47], vcc
	s_cbranch_execz .LBB0_535
; %bb.534:                              ;   in Loop: Header=BB0_347 Depth=2
	v_and_b32_e32 v22, 7, v2
	v_ffbh_u32_e32 v31, v22
	v_min_u32_e32 v31, 32, v31
	v_subrev_u32_e32 v32, 28, v31
	v_lshlrev_b64 v[32:33], v32, v[2:3]
	v_lshrrev_b32_e32 v23, 3, v4
	v_sub_u32_e32 v31, 29, v31
	v_and_b32_e32 v32, 7, v32
	v_cmp_gt_u32_e32 vcc, 8, v4
	v_cndmask_b32_e32 v4, v23, v31, vcc
	v_cndmask_b32_e32 v22, v22, v32, vcc
	v_lshlrev_b32_e32 v2, 24, v2
	v_lshlrev_b32_e32 v22, 20, v22
	v_and_b32_e32 v2, 0x80000000, v2
	v_lshl_add_u32 v4, v4, 23, v46
	v_or3_b32 v31, v2, v4, v22
.LBB0_535:                              ;   in Loop: Header=BB0_347 Depth=2
	s_or_b64 exec, exec, s[46:47]
.LBB0_536:                              ;   in Loop: Header=BB0_347 Depth=2
	s_or_b64 exec, exec, s[44:45]
.LBB0_537:                              ;   in Loop: Header=BB0_347 Depth=2
	s_or_b64 exec, exec, s[16:17]
	v_cmp_lt_u32_e32 vcc, s64, v40
	s_and_saveexec_b64 s[16:17], vcc
	s_cbranch_execz .LBB0_543
; %bb.538:                              ;   in Loop: Header=BB0_347 Depth=2
	v_lshrrev_b32_e32 v2, 24, v40
	v_cmp_ne_u32_sdwa vcc, v40, s61 src0_sel:BYTE_3 src1_sel:DWORD
	v_bfrev_b32_e32 v3, 1
	s_and_saveexec_b64 s[44:45], vcc
	s_cbranch_execz .LBB0_542
; %bb.539:                              ;   in Loop: Header=BB0_347 Depth=2
	v_bfe_u32 v4, v40, 24, 7
	v_cmp_ne_u32_e32 vcc, s62, v4
	v_mov_b32_e32 v3, 0x7f800001
	s_and_saveexec_b64 s[46:47], vcc
	s_cbranch_execz .LBB0_541
; %bb.540:                              ;   in Loop: Header=BB0_347 Depth=2
	v_and_b32_e32 v22, 7, v2
	v_ffbh_u32_e32 v3, v22
	v_min_u32_e32 v32, 32, v3
	v_subrev_u32_e32 v3, 28, v32
	v_lshlrev_b64 v[2:3], v3, v[2:3]
	v_lshrrev_b32_e32 v23, 3, v4
	v_sub_u32_e32 v3, 29, v32
	v_and_b32_e32 v2, 7, v2
	v_cmp_gt_u32_e32 vcc, 8, v4
	v_cndmask_b32_e32 v3, v23, v3, vcc
	v_cndmask_b32_e32 v2, v22, v2, vcc
	v_lshlrev_b32_sdwa v4, v6, v40 dst_sel:DWORD dst_unused:UNUSED_PAD src0_sel:DWORD src1_sel:BYTE_3
	v_lshlrev_b32_e32 v2, 20, v2
	v_and_b32_e32 v4, 0x80000000, v4
	v_lshl_add_u32 v3, v3, 23, v46
	v_or3_b32 v3, v4, v3, v2
.LBB0_541:                              ;   in Loop: Header=BB0_347 Depth=2
	s_or_b64 exec, exec, s[46:47]
.LBB0_542:                              ;   in Loop: Header=BB0_347 Depth=2
	s_or_b64 exec, exec, s[44:45]
.LBB0_543:                              ;   in Loop: Header=BB0_347 Depth=2
	s_or_b64 exec, exec, s[16:17]
	v_mul_f32_e32 v3, v31, v3
	v_and_b32_sdwa v4, v3, s61 dst_sel:DWORD dst_unused:UNUSED_PAD src0_sel:BYTE_3 src1_sel:DWORD
	v_and_b32_e32 v32, 0x7f800000, v3
	v_mov_b32_e32 v33, v41
	v_and_b32_e32 v40, 0x7fffff, v3
	v_or_b32_e32 v2, 0x7e, v4
	v_cmp_ne_u64_e32 vcc, s[36:37], v[32:33]
	s_and_saveexec_b64 s[16:17], vcc
	s_xor_b64 s[44:45], exec, s[16:17]
	s_cbranch_execz .LBB0_553
; %bb.544:                              ;   in Loop: Header=BB0_347 Depth=2
	v_and_b32_e32 v32, 0x7fffffff, v3
	v_mov_b32_e32 v33, v41
	v_cmp_gt_u64_e32 vcc, s[38:39], v[32:33]
	s_and_saveexec_b64 s[46:47], vcc
	s_cbranch_execz .LBB0_552
; %bb.545:                              ;   in Loop: Header=BB0_347 Depth=2
	v_cmp_ne_u32_e32 vcc, 0, v3
	v_mov_b32_e32 v2, 0
	s_and_saveexec_b64 s[48:49], vcc
	s_cbranch_execz .LBB0_551
; %bb.546:                              ;   in Loop: Header=BB0_347 Depth=2
	v_bfe_u32 v2, v3, 23, 8
	v_sub_u32_e32 v22, 0x79, v2
	v_cmp_gt_u32_e32 vcc, s63, v2
	v_cndmask_b32_e32 v22, 0, v22, vcc
	v_cmp_eq_u32_e32 vcc, 0, v2
	v_or_b32_e32 v23, 0x800000, v40
	v_cndmask_b32_e32 v22, v22, v30, vcc
	v_add_u32_e32 v3, 0xffffff81, v2
	v_cndmask_b32_e32 v40, v23, v40, vcc
	v_add_u32_e32 v2, 20, v22
	v_cndmask_b32_e32 v31, v3, v47, vcc
	v_lshlrev_b64 v[2:3], v2, -1
	v_add_u32_e32 v23, 19, v22
	v_lshrrev_b64 v[54:55], v22, v[40:41]
	v_not_b32_e32 v3, v3
	v_not_b32_e32 v2, v2
	v_lshlrev_b64 v[48:49], v23, 1
	v_lshrrev_b32_e32 v23, 23, v54
	v_and_b32_e32 v3, 0, v3
	v_and_b32_e32 v2, v40, v2
	v_add3_u32 v33, v22, v31, v23
	v_bfe_u32 v22, v54, 20, 1
	v_add_u32_e32 v22, -1, v22
	v_cmp_eq_u64_e32 vcc, v[2:3], v[48:49]
	v_cndmask_b32_e32 v2, 0, v22, vcc
	v_add_u32_e32 v2, v2, v54
	v_and_b32_e32 v2, 0xfffff, v2
	v_add_co_u32_e32 v2, vcc, v2, v54
	v_add_u32_e32 v32, 6, v33
	v_addc_co_u32_e32 v3, vcc, 0, v55, vcc
	v_cmp_ne_u32_e32 vcc, 0, v32
                                        ; implicit-def: $vgpr31
	s_and_saveexec_b64 s[16:17], vcc
	s_xor_b64 s[16:17], exec, s[16:17]
; %bb.547:                              ;   in Loop: Header=BB0_347 Depth=2
	v_add_u32_e32 v22, 7, v33
	v_cmp_lt_u64_e32 vcc, s[40:41], v[2:3]
	v_cndmask_b32_e32 v31, v32, v22, vcc
	v_cndmask_b32_e64 v22, 0, 1, vcc
	v_lshrrev_b64 v[2:3], v22, v[2:3]
; %bb.548:                              ;   in Loop: Header=BB0_347 Depth=2
	s_andn2_saveexec_b64 s[16:17], s[16:17]
; %bb.549:                              ;   in Loop: Header=BB0_347 Depth=2
	v_bfe_u32 v31, v2, 23, 1
; %bb.550:                              ;   in Loop: Header=BB0_347 Depth=2
	s_or_b64 exec, exec, s[16:17]
	v_lshrrev_b64 v[2:3], 20, v[2:3]
	v_cmp_gt_i32_e32 vcc, 16, v31
	v_cndmask_b32_e32 v3, 0, v3, vcc
	v_cndmask_b32_e32 v2, 7, v2, vcc
	v_cmp_eq_u64_e64 s[16:17], 0, v[2:3]
	v_min_i32_e32 v3, 15, v31
	v_lshlrev_b32_e32 v3, 3, v3
	v_cmp_eq_u32_e32 vcc, 0, v31
	v_and_b32_e32 v3, 0xf8, v3
	v_and_or_b32 v2, v2, 7, v3
	s_and_b64 s[16:17], vcc, s[16:17]
	v_cndmask_b32_e64 v2, v2, 0, s[16:17]
	v_accvgpr_read_b32 v37, a9
	v_accvgpr_read_b32 v55, a41
	v_or_b32_e32 v2, v2, v4
	v_accvgpr_read_b32 v36, a8
	v_accvgpr_read_b32 v54, a40
.LBB0_551:                              ;   in Loop: Header=BB0_347 Depth=2
	s_or_b64 exec, exec, s[48:49]
.LBB0_552:                              ;   in Loop: Header=BB0_347 Depth=2
	s_or_b64 exec, exec, s[46:47]
                                        ; implicit-def: $vgpr3
.LBB0_553:                              ;   in Loop: Header=BB0_347 Depth=2
	s_andn2_saveexec_b64 s[16:17], s[44:45]
; %bb.554:                              ;   in Loop: Header=BB0_347 Depth=2
	v_or_b32_sdwa v3, v3, s62 dst_sel:DWORD dst_unused:UNUSED_PAD src0_sel:BYTE_3 src1_sel:DWORD
	v_cmp_eq_u64_e32 vcc, 0, v[40:41]
	v_cndmask_b32_e32 v2, v3, v2, vcc
; %bb.555:                              ;   in Loop: Header=BB0_347 Depth=2
	s_or_b64 exec, exec, s[16:17]
	v_lshlrev_b32_e32 v3, 8, v11
	v_lshlrev_b32_e32 v2, 24, v2
	;; [unrolled: 1-line block ×3, first 2 shown]
	v_perm_b32 v3, v3, v5, s65
	v_cmp_lt_u32_e32 vcc, 7, v21
	v_or3_b32 v3, v2, v3, v4
	v_cndmask_b32_e64 v2, 0, 1, vcc
	;;#ASMSTART
	;;#ASMEND
	v_cmp_ne_u32_e64 s[16:17], 0, v2
	s_cmp_lg_u64 s[16:17], exec
	s_mov_b64 s[16:17], -1
	s_cbranch_scc0 .LBB0_565
; %bb.556:                              ;   in Loop: Header=BB0_347 Depth=2
	v_cmp_ne_u32_e64 s[16:17], 1, v21
	flat_store_byte v[0:1], v8
	s_and_saveexec_b64 s[44:45], s[16:17]
	s_cbranch_execnz .LBB0_567
; %bb.557:                              ;   in Loop: Header=BB0_347 Depth=2
	s_or_b64 exec, exec, s[44:45]
	v_cmp_lt_u32_e64 s[16:17], 2, v21
	s_and_saveexec_b64 s[44:45], s[16:17]
	s_cbranch_execnz .LBB0_568
.LBB0_558:                              ;   in Loop: Header=BB0_347 Depth=2
	s_or_b64 exec, exec, s[44:45]
	v_cmp_lt_u32_e64 s[16:17], 3, v21
	s_and_saveexec_b64 s[44:45], s[16:17]
	s_cbranch_execnz .LBB0_569
.LBB0_559:                              ;   in Loop: Header=BB0_347 Depth=2
	s_or_b64 exec, exec, s[44:45]
	v_cmp_lt_u32_e64 s[16:17], 4, v21
	s_and_saveexec_b64 s[44:45], s[16:17]
	s_cbranch_execnz .LBB0_570
.LBB0_560:                              ;   in Loop: Header=BB0_347 Depth=2
	s_or_b64 exec, exec, s[44:45]
	v_cmp_lt_u32_e64 s[16:17], 5, v21
	s_and_saveexec_b64 s[44:45], s[16:17]
	s_cbranch_execnz .LBB0_571
.LBB0_561:                              ;   in Loop: Header=BB0_347 Depth=2
	s_or_b64 exec, exec, s[44:45]
	v_cmp_lt_u32_e64 s[16:17], 6, v21
	s_and_saveexec_b64 s[44:45], s[16:17]
	s_cbranch_execnz .LBB0_572
.LBB0_562:                              ;   in Loop: Header=BB0_347 Depth=2
	s_or_b64 exec, exec, s[44:45]
	s_and_saveexec_b64 s[16:17], vcc
	s_cbranch_execz .LBB0_564
.LBB0_563:                              ;   in Loop: Header=BB0_347 Depth=2
	v_lshrrev_b32_e32 v2, 24, v3
	flat_store_byte v[0:1], v2 offset:7
.LBB0_564:                              ;   in Loop: Header=BB0_347 Depth=2
	s_or_b64 exec, exec, s[16:17]
	s_mov_b64 s[16:17], 0
.LBB0_565:                              ;   in Loop: Header=BB0_347 Depth=2
	s_and_b64 vcc, exec, s[16:17]
	s_cbranch_vccz .LBB0_346
; %bb.566:                              ;   in Loop: Header=BB0_347 Depth=2
	v_perm_b32 v4, v10, v27, s66
	v_lshlrev_b32_e32 v2, 8, v9
	v_perm_b32 v4, v4, v8, s67
	v_and_or_b32 v2, v2, s68, v4
	global_store_dwordx2 v[0:1], v[2:3], off
	s_branch .LBB0_346
.LBB0_567:                              ;   in Loop: Header=BB0_347 Depth=2
	flat_store_byte v[0:1], v9 offset:1
	s_or_b64 exec, exec, s[44:45]
	v_cmp_lt_u32_e64 s[16:17], 2, v21
	s_and_saveexec_b64 s[44:45], s[16:17]
	s_cbranch_execz .LBB0_558
.LBB0_568:                              ;   in Loop: Header=BB0_347 Depth=2
	flat_store_byte v[0:1], v27 offset:2
	s_or_b64 exec, exec, s[44:45]
	v_cmp_lt_u32_e64 s[16:17], 3, v21
	s_and_saveexec_b64 s[44:45], s[16:17]
	s_cbranch_execz .LBB0_559
.LBB0_569:                              ;   in Loop: Header=BB0_347 Depth=2
	flat_store_byte v[0:1], v10 offset:3
	s_or_b64 exec, exec, s[44:45]
	v_cmp_lt_u32_e64 s[16:17], 4, v21
	s_and_saveexec_b64 s[44:45], s[16:17]
	s_cbranch_execz .LBB0_560
.LBB0_570:                              ;   in Loop: Header=BB0_347 Depth=2
	flat_store_byte v[0:1], v5 offset:4
	s_or_b64 exec, exec, s[44:45]
	v_cmp_lt_u32_e64 s[16:17], 5, v21
	s_and_saveexec_b64 s[44:45], s[16:17]
	s_cbranch_execz .LBB0_561
.LBB0_571:                              ;   in Loop: Header=BB0_347 Depth=2
	flat_store_byte v[0:1], v11 offset:5
	s_or_b64 exec, exec, s[44:45]
	v_cmp_lt_u32_e64 s[16:17], 6, v21
	s_and_saveexec_b64 s[44:45], s[16:17]
	s_cbranch_execz .LBB0_562
.LBB0_572:                              ;   in Loop: Header=BB0_347 Depth=2
	flat_store_byte v[0:1], v29 offset:6
	s_or_b64 exec, exec, s[44:45]
	s_and_saveexec_b64 s[16:17], vcc
	s_cbranch_execnz .LBB0_563
	s_branch .LBB0_564
.LBB0_573:                              ;   in Loop: Header=BB0_21 Depth=1
	s_or_b64 exec, exec, s[42:43]
	v_accvgpr_read_b32 v29, a36
.LBB0_574:                              ;   in Loop: Header=BB0_21 Depth=1
	s_or_b64 exec, exec, s[18:19]
	v_accvgpr_read_b32 v25, a3
	v_accvgpr_read_b32 v24, a2
	s_and_saveexec_b64 s[16:17], s[10:11]
	s_cbranch_execz .LBB0_593
; %bb.575:                              ;   in Loop: Header=BB0_21 Depth=1
	s_and_saveexec_b64 s[18:19], s[28:29]
	s_xor_b64 s[18:19], exec, s[18:19]
	s_cbranch_execz .LBB0_590
; %bb.576:                              ;   in Loop: Header=BB0_21 Depth=1
	s_and_saveexec_b64 s[42:43], s[12:13]
	s_cbranch_execz .LBB0_589
; %bb.577:                              ;   in Loop: Header=BB0_21 Depth=1
	s_mov_b64 s[46:47], exec
	v_mbcnt_lo_u32_b32 v0, s46, 0
	v_mbcnt_hi_u32_b32 v0, s47, v0
	v_cmp_eq_u32_e32 vcc, 0, v0
	s_waitcnt vmcnt(0) lgkmcnt(0)
	buffer_wbinvl1_vol
	s_and_saveexec_b64 s[44:45], vcc
	s_cbranch_execz .LBB0_579
; %bb.578:                              ;   in Loop: Header=BB0_21 Depth=1
	s_bcnt1_i32_b64 vcc_lo, s[46:47]
	v_mov_b32_e32 v40, vcc_lo
	ds_add_u64 v0, v[40:41]
	s_trap 2
.LBB0_579:                              ;   in Loop: Header=BB0_21 Depth=1
	s_or_b64 exec, exec, s[44:45]
	s_trap 2
	ds_read_b64 v[0:1], v0
	v_accvgpr_read_b32 v2, a26
	v_add_co_u32_e32 v42, vcc, v42, v2
	v_accvgpr_read_b32 v3, a27
	v_addc_co_u32_e32 v43, vcc, v43, v3, vcc
	s_waitcnt lgkmcnt(0)
	v_cmp_lt_u64_e32 vcc, v[0:1], v[42:43]
	s_and_saveexec_b64 s[44:45], vcc
	s_cbranch_execz .LBB0_588
; %bb.580:                              ;   in Loop: Header=BB0_21 Depth=1
	s_mov_b32 s56, 0
	s_mov_b64 s[46:47], 0
                                        ; implicit-def: $sgpr48_sgpr49
                                        ; implicit-def: $sgpr50_sgpr51
	s_branch .LBB0_582
.LBB0_581:                              ;   in Loop: Header=BB0_582 Depth=2
	s_or_b64 exec, exec, s[54:55]
	s_and_b64 vcc, exec, vcc
	s_or_b64 s[46:47], vcc, s[46:47]
	s_andn2_b64 vcc, s[48:49], exec
	s_and_b64 s[48:49], s[50:51], exec
	s_or_b64 s[48:49], vcc, s[48:49]
	s_andn2_b64 exec, exec, s[46:47]
	s_cbranch_execz .LBB0_586
.LBB0_582:                              ;   Parent Loop BB0_21 Depth=1
                                        ; =>  This Inner Loop Header: Depth=2
	s_add_i32 s56, s56, 1
	s_cmpk_lg_i32 s56, 0x2710
	s_cselect_b64 s[52:53], -1, 0
	s_and_b64 vcc, exec, s[52:53]
                                        ; implicit-def: $sgpr54_sgpr55
	s_cbranch_vccnz .LBB0_584
; %bb.583:                              ;   in Loop: Header=BB0_582 Depth=2
	s_trap 2
	ds_read_b64 v[0:1], v0
	s_andn2_b64 s[52:53], s[52:53], exec
	s_mov_b32 s56, 0
	s_mov_b64 s[54:55], -1
	s_waitcnt lgkmcnt(0)
	flat_load_dword v0, v[0:1] glc
	s_waitcnt vmcnt(0) lgkmcnt(0)
	buffer_invl2
	buffer_wbinvl1_vol
	v_cmp_eq_u32_e32 vcc, 0, v0
	s_and_b64 vcc, vcc, exec
	s_or_b64 s[52:53], s[52:53], vcc
.LBB0_584:                              ;   in Loop: Header=BB0_582 Depth=2
	s_andn2_b64 s[50:51], s[50:51], exec
	s_and_b64 s[54:55], s[54:55], exec
	s_mov_b64 vcc, -1
	s_or_b64 s[50:51], s[50:51], s[54:55]
	s_and_saveexec_b64 s[54:55], s[52:53]
	s_cbranch_execz .LBB0_581
; %bb.585:                              ;   in Loop: Header=BB0_582 Depth=2
	s_sleep 1
	s_trap 2
	ds_read_b64 v[0:1], v0
	s_andn2_b64 s[50:51], s[50:51], exec
	s_waitcnt lgkmcnt(0)
	v_cmp_ge_u64_e32 vcc, v[0:1], v[42:43]
	s_orn2_b64 vcc, vcc, exec
	s_branch .LBB0_581
.LBB0_586:                              ;   in Loop: Header=BB0_21 Depth=1
	s_or_b64 exec, exec, s[46:47]
	s_and_saveexec_b64 vcc, s[48:49]
	s_xor_b64 vcc, exec, vcc
	s_cbranch_execz .LBB0_588
; %bb.587:                              ;   in Loop: Header=BB0_21 Depth=1
	v_mov_b32_e32 v0, 1
	ds_write_b32 v0, v0
	s_trap 2
.LBB0_588:                              ;   in Loop: Header=BB0_21 Depth=1
	s_or_b64 exec, exec, s[44:45]
	;;#ASMSTART
	s_wakeup
	;;#ASMEND
.LBB0_589:                              ;   in Loop: Header=BB0_21 Depth=1
	s_or_b64 exec, exec, s[42:43]
.LBB0_590:                              ;   in Loop: Header=BB0_21 Depth=1
	s_andn2_saveexec_b64 s[18:19], s[18:19]
	s_cbranch_execz .LBB0_592
; %bb.591:                              ;   in Loop: Header=BB0_21 Depth=1
	s_waitcnt vmcnt(0) lgkmcnt(0)
	buffer_wbinvl1_vol
	s_barrier
.LBB0_592:                              ;   in Loop: Header=BB0_21 Depth=1
	s_or_b64 exec, exec, s[18:19]
.LBB0_593:                              ;   in Loop: Header=BB0_21 Depth=1
	s_or_b64 exec, exec, s[16:17]
	s_and_saveexec_b64 s[16:17], s[14:15]
	s_cbranch_execz .LBB0_20
; %bb.594:                              ;   in Loop: Header=BB0_21 Depth=1
	v_add_co_u32_e32 v38, vcc, 1, v38
	v_accvgpr_read_b32 v0, a20
	v_addc_co_u32_e32 v39, vcc, 0, v39, vcc
	v_accvgpr_read_b32 v1, a21
	flat_store_dwordx2 v[0:1], v[38:39]
	s_branch .LBB0_20
.LBB0_595:
	s_or_b64 exec, exec, s[26:27]
	v_accvgpr_read_b32 v19, a13
	v_accvgpr_read_b32 v27, a15
	;; [unrolled: 1-line block ×6, first 2 shown]
.LBB0_596:
	s_or_b64 exec, exec, s[24:25]
; %bb.597:
	s_and_saveexec_b64 s[6:7], s[22:23]
	s_cbranch_execnz .LBB0_600
; %bb.598:
	s_or_b64 exec, exec, s[6:7]
	s_and_saveexec_b64 s[6:7], s[4:5]
	s_cbranch_execnz .LBB0_601
.LBB0_599:
	s_or_b64 exec, exec, s[6:7]
	v_cmp_ne_u32_e32 vcc, 64, v20
	s_and_saveexec_b64 s[4:5], vcc
	s_cbranch_execnz .LBB0_602
	s_branch .LBB0_619
.LBB0_600:
	s_waitcnt vmcnt(0) lgkmcnt(0)
	flat_store_dwordx2 v[26:27], v[38:39] offset:104
	s_or_b64 exec, exec, s[6:7]
	s_and_saveexec_b64 s[6:7], s[4:5]
	s_cbranch_execz .LBB0_599
.LBB0_601:
	s_waitcnt vmcnt(0) lgkmcnt(0)
	flat_store_dwordx2 v[18:19], v[14:15] offset:104
	s_or_b64 exec, exec, s[6:7]
	v_cmp_ne_u32_e32 vcc, 64, v20
	s_and_saveexec_b64 s[4:5], vcc
	s_cbranch_execz .LBB0_619
.LBB0_602:
	v_cmp_ne_u32_sdwa s[6:7], v9, v20 src0_sel:WORD_0 src1_sel:DWORD
	s_and_saveexec_b64 s[8:9], s[6:7]
	s_xor_b64 s[6:7], exec, s[8:9]
	s_cbranch_execz .LBB0_617
; %bb.603:
	v_and_b32_e32 v0, 63, v31
	v_cmp_eq_u32_e32 vcc, 0, v0
	s_and_saveexec_b64 s[8:9], vcc
	s_cbranch_execz .LBB0_616
; %bb.604:
	s_mov_b64 s[12:13], exec
	v_mbcnt_lo_u32_b32 v0, s12, 0
	v_mbcnt_hi_u32_b32 v0, s13, v0
	v_cmp_eq_u32_e32 vcc, 0, v0
	s_waitcnt vmcnt(0) lgkmcnt(0)
	buffer_wbinvl1_vol
	s_and_saveexec_b64 s[10:11], vcc
	s_cbranch_execz .LBB0_606
; %bb.605:
	s_bcnt1_i32_b64 s12, s[12:13]
	v_mov_b32_e32 v0, s12
	v_mov_b32_e32 v1, 0
	ds_add_u64 v0, v[0:1]
	s_trap 2
.LBB0_606:
	s_or_b64 exec, exec, s[10:11]
	v_ashrrev_i32_e32 v0, 31, v20
	v_lshrrev_b32_e32 v0, 26, v0
	v_add_u32_e32 v0, v20, v0
	v_ashrrev_i32_e32 v0, 6, v0
	s_trap 2
	ds_read_b64 v[2:3], v0
	v_ashrrev_i32_e32 v1, 31, v0
	v_add_co_u32_e32 v0, vcc, v42, v0
	v_addc_co_u32_e32 v1, vcc, v43, v1, vcc
	s_waitcnt lgkmcnt(0)
	v_cmp_lt_u64_e32 vcc, v[2:3], v[0:1]
	s_and_saveexec_b64 s[10:11], vcc
	s_cbranch_execz .LBB0_615
; %bb.607:
	s_mov_b32 s24, 0
	s_mov_b64 s[12:13], 0
                                        ; implicit-def: $sgpr14_sgpr15
                                        ; implicit-def: $sgpr16_sgpr17
	s_branch .LBB0_609
.LBB0_608:                              ;   in Loop: Header=BB0_609 Depth=1
	s_or_b64 exec, exec, s[22:23]
	s_and_b64 s[18:19], exec, s[20:21]
	s_or_b64 s[12:13], s[18:19], s[12:13]
	s_andn2_b64 s[14:15], s[14:15], exec
	s_and_b64 s[18:19], s[16:17], exec
	s_or_b64 s[14:15], s[14:15], s[18:19]
	s_andn2_b64 exec, exec, s[12:13]
	s_cbranch_execz .LBB0_613
.LBB0_609:                              ; =>This Inner Loop Header: Depth=1
	s_add_i32 s24, s24, 1
	s_cmpk_lg_i32 s24, 0x2710
	s_cselect_b64 s[18:19], -1, 0
	s_and_b64 vcc, exec, s[18:19]
                                        ; implicit-def: $sgpr22_sgpr23
	s_cbranch_vccnz .LBB0_611
; %bb.610:                              ;   in Loop: Header=BB0_609 Depth=1
	s_trap 2
	ds_read_b64 v[2:3], v0
	s_andn2_b64 s[18:19], s[18:19], exec
	s_mov_b32 s24, 0
	s_mov_b64 s[22:23], -1
	s_waitcnt lgkmcnt(0)
	flat_load_dword v2, v[2:3] glc
	s_waitcnt vmcnt(0) lgkmcnt(0)
	buffer_invl2
	buffer_wbinvl1_vol
	v_cmp_eq_u32_e32 vcc, 0, v2
	s_and_b64 s[20:21], vcc, exec
	s_or_b64 s[18:19], s[18:19], s[20:21]
.LBB0_611:                              ;   in Loop: Header=BB0_609 Depth=1
	s_andn2_b64 s[16:17], s[16:17], exec
	s_and_b64 s[22:23], s[22:23], exec
	s_mov_b64 s[20:21], -1
	s_or_b64 s[16:17], s[16:17], s[22:23]
	s_and_saveexec_b64 s[22:23], s[18:19]
	s_cbranch_execz .LBB0_608
; %bb.612:                              ;   in Loop: Header=BB0_609 Depth=1
	s_sleep 1
	s_trap 2
	ds_read_b64 v[2:3], v0
	s_andn2_b64 s[16:17], s[16:17], exec
	s_waitcnt lgkmcnt(0)
	v_cmp_ge_u64_e32 vcc, v[2:3], v[0:1]
	s_orn2_b64 s[20:21], vcc, exec
	s_branch .LBB0_608
.LBB0_613:
	s_or_b64 exec, exec, s[12:13]
	s_and_saveexec_b64 s[12:13], s[14:15]
	s_xor_b64 s[12:13], exec, s[12:13]
	s_cbranch_execz .LBB0_615
; %bb.614:
	v_mov_b32_e32 v0, 1
	ds_write_b32 v0, v0
	s_trap 2
.LBB0_615:
	s_or_b64 exec, exec, s[10:11]
	;;#ASMSTART
	s_wakeup
	;;#ASMEND
.LBB0_616:
	s_or_b64 exec, exec, s[8:9]
.LBB0_617:
	s_andn2_saveexec_b64 s[6:7], s[6:7]
	s_cbranch_execz .LBB0_619
; %bb.618:
	s_waitcnt vmcnt(0) lgkmcnt(0)
	buffer_wbinvl1_vol
	s_barrier
.LBB0_619:
	s_or_b64 exec, exec, s[4:5]
	buffer_load_dword a45, off, s[0:3], s32 ; 4-byte Folded Reload
	buffer_load_dword a44, off, s[0:3], s32 offset:4 ; 4-byte Folded Reload
	buffer_load_dword a43, off, s[0:3], s32 offset:8 ; 4-byte Folded Reload
	;; [unrolled: 1-line block ×28, first 2 shown]
	v_readlane_b32 s30, v63, 37
	v_readlane_b32 s31, v63, 38
	;; [unrolled: 1-line block ×39, first 2 shown]
	s_or_saveexec_b64 s[4:5], -1
	buffer_load_dword v63, off, s[0:3], s32 offset:116 ; 4-byte Folded Reload
	s_mov_b64 exec, s[4:5]
	s_waitcnt vmcnt(0) lgkmcnt(0)
	s_setpc_b64 s[30:31]
.Lfunc_end0:
	.size	_ZN12_GLOBAL__N_17runRingI14__hip_fp8_e4m38FuncProdIS1_E7ProtoLLLi0ELi1ELi0EEEviiP15ncclDevWorkColl, .Lfunc_end0-_ZN12_GLOBAL__N_17runRingI14__hip_fp8_e4m38FuncProdIS1_E7ProtoLLLi0ELi1ELi0EEEviiP15ncclDevWorkColl
                                        ; -- End function
	.section	.AMDGPU.csdata,"",@progbits
; Function info:
; codeLenInByte = 20972
; NumSgprs: 75
; NumVgprs: 64
; NumAgprs: 46
; TotalNumVgprs: 110
; ScratchSize: 124
; MemoryBound: 0
	.text
	.p2align	2                               ; -- Begin function _Z51ncclDevFunc_ReduceScatter_RING_LL_Prod_f8e4m3_0_0_1v
	.type	_Z51ncclDevFunc_ReduceScatter_RING_LL_Prod_f8e4m3_0_0_1v,@function
_Z51ncclDevFunc_ReduceScatter_RING_LL_Prod_f8e4m3_0_0_1v: ; @_Z51ncclDevFunc_ReduceScatter_RING_LL_Prod_f8e4m3_0_0_1v
; %bb.0:
	s_waitcnt vmcnt(0) expcnt(0) lgkmcnt(0)
	s_mov_b32 s4, s33
	s_mov_b32 s33, s32
	s_or_saveexec_b64 s[6:7], -1
	buffer_store_dword v43, off, s[0:3], s33 offset:16 ; 4-byte Folded Spill
	s_mov_b64 exec, s[6:7]
	v_writelane_b32 v43, s4, 47
	s_addk_i32 s32, 0x800
	buffer_store_dword v40, off, s[0:3], s33 offset:12 ; 4-byte Folded Spill
	buffer_store_dword v41, off, s[0:3], s33 offset:8 ; 4-byte Folded Spill
	buffer_store_dword v42, off, s[0:3], s33 offset:4 ; 4-byte Folded Spill
	buffer_store_dword v63, off, s[0:3], s33 ; 4-byte Folded Spill
	v_writelane_b32 v43, s34, 0
	v_writelane_b32 v43, s35, 1
	;; [unrolled: 1-line block ×47, first 2 shown]
	s_trap 2
	ds_read_b32 v0, v0
	v_mov_b32_e32 v40, v31
	s_mov_b32 s71, s12
	s_mov_b64 s[72:73], s[8:9]
	s_waitcnt lgkmcnt(0)
	v_cmp_gt_i32_e32 vcc, 1, v0
	s_cbranch_vccnz .LBB1_8
; %bb.1:
	s_mov_b32 s78, 0
	v_and_b32_e32 v41, 0x3ff, v40
	s_mov_b64 s[74:75], src_shared_base
	v_mov_b32_e32 v42, 6
	s_branch .LBB1_3
.LBB1_2:                                ;   in Loop: Header=BB1_3 Depth=1
	s_or_b64 exec, exec, s[76:77]
	s_trap 2
	ds_read_b32 v0, v0
	s_add_i32 s78, s78, 1
	s_waitcnt lgkmcnt(0)
	v_cmp_lt_i32_e32 vcc, s78, v0
	s_cbranch_vccz .LBB1_8
.LBB1_3:                                ; =>This Inner Loop Header: Depth=1
	s_trap 2
	ds_read_b32 v0, v0
	s_cmp_eq_u32 s78, 0
	s_cbranch_scc1 .LBB1_6
; %bb.4:                                ;   in Loop: Header=BB1_3 Depth=1
	s_trap 2
	s_waitcnt lgkmcnt(0)
	ds_read_b32 v1, v0
	s_waitcnt lgkmcnt(0)
	v_xor_b32_e32 v1, v1, v0
	v_and_b32_e32 v1, 0xff0000, v1
	v_cmp_eq_u32_e32 vcc, 0, v1
	s_cbranch_vccnz .LBB1_6
; %bb.5:                                ;   in Loop: Header=BB1_3 Depth=1
	s_barrier
	ds_read_b32 v0, v0
.LBB1_6:                                ;   in Loop: Header=BB1_3 Depth=1
	s_waitcnt lgkmcnt(0)
	v_lshlrev_b32_sdwa v1, v42, v0 dst_sel:DWORD dst_unused:UNUSED_PAD src0_sel:DWORD src1_sel:BYTE_2
	v_cmp_lt_u32_e32 vcc, v41, v1
	s_and_saveexec_b64 s[76:77], vcc
	s_cbranch_execz .LBB1_2
; %bb.7:                                ;   in Loop: Header=BB1_3 Depth=1
	s_mov_b64 s[8:9], s[72:73]
	s_mov_b32 s12, s71
	v_mov_b32_e32 v31, v40
	v_mov_b32_e32 v0, v41
	;; [unrolled: 1-line block ×3, first 2 shown]
	s_getpc_b64 s[4:5]
	s_add_u32 s4, s4, _ZN12_GLOBAL__N_17runRingI14__hip_fp8_e4m38FuncProdIS1_E7ProtoLLLi0ELi1ELi0EEEviiP15ncclDevWorkColl@rel32@lo+4
	s_addc_u32 s5, s5, _ZN12_GLOBAL__N_17runRingI14__hip_fp8_e4m38FuncProdIS1_E7ProtoLLLi0ELi1ELi0EEEviiP15ncclDevWorkColl@rel32@hi+12
	s_swappc_b64 s[30:31], s[4:5]
	s_branch .LBB1_2
.LBB1_8:
	buffer_load_dword v63, off, s[0:3], s33 ; 4-byte Folded Reload
	buffer_load_dword v42, off, s[0:3], s33 offset:4 ; 4-byte Folded Reload
	buffer_load_dword v41, off, s[0:3], s33 offset:8 ; 4-byte Folded Reload
	;; [unrolled: 1-line block ×3, first 2 shown]
	v_readlane_b32 s30, v43, 45
	v_readlane_b32 s31, v43, 46
	;; [unrolled: 1-line block ×48, first 2 shown]
	s_or_saveexec_b64 s[6:7], -1
	buffer_load_dword v43, off, s[0:3], s33 offset:16 ; 4-byte Folded Reload
	s_mov_b64 exec, s[6:7]
	s_addk_i32 s32, 0xf800
	s_mov_b32 s33, s4
	s_waitcnt vmcnt(0)
	s_setpc_b64 s[30:31]
.Lfunc_end1:
	.size	_Z51ncclDevFunc_ReduceScatter_RING_LL_Prod_f8e4m3_0_0_1v, .Lfunc_end1-_Z51ncclDevFunc_ReduceScatter_RING_LL_Prod_f8e4m3_0_0_1v
                                        ; -- End function
	.section	.AMDGPU.csdata,"",@progbits
; Function info:
; codeLenInByte = 1132
; NumSgprs: 83
; NumVgprs: 64
; NumAgprs: 46
; TotalNumVgprs: 110
; ScratchSize: 156
; MemoryBound: 0
	.text
	.p2align	2                               ; -- Begin function _ZN12_GLOBAL__N_17runRingI14__hip_fp8_e4m38FuncProdIS1_E7ProtoLLLi0ELi2ELi0EEEviiP15ncclDevWorkColl
	.type	_ZN12_GLOBAL__N_17runRingI14__hip_fp8_e4m38FuncProdIS1_E7ProtoLLLi0ELi2ELi0EEEviiP15ncclDevWorkColl,@function
_ZN12_GLOBAL__N_17runRingI14__hip_fp8_e4m38FuncProdIS1_E7ProtoLLLi0ELi2ELi0EEEviiP15ncclDevWorkColl: ; @_ZN12_GLOBAL__N_17runRingI14__hip_fp8_e4m38FuncProdIS1_E7ProtoLLLi0ELi2ELi0EEEviiP15ncclDevWorkColl
; %bb.0:
	s_waitcnt vmcnt(0) expcnt(0) lgkmcnt(0)
	s_or_saveexec_b64 s[4:5], -1
	buffer_store_dword v63, off, s[0:3], s32 offset:116 ; 4-byte Folded Spill
	s_mov_b64 exec, s[4:5]
	buffer_store_dword v40, off, s[0:3], s32 offset:112 ; 4-byte Folded Spill
	buffer_store_dword v41, off, s[0:3], s32 offset:108 ; 4-byte Folded Spill
	;; [unrolled: 1-line block ×28, first 2 shown]
	buffer_store_dword a45, off, s[0:3], s32 ; 4-byte Folded Spill
	v_writelane_b32 v63, s34, 0
	v_writelane_b32 v63, s35, 1
	;; [unrolled: 1-line block ×39, first 2 shown]
	v_mov_b32_e32 v20, v1
	v_mov_b32_e32 v44, v0
	s_trap 2
	flat_load_dword v7, v[2:3]
	flat_load_dwordx4 v[22:25], v[2:3] offset:72
	flat_load_dwordx2 v[0:1], v[2:3] offset:88
                                        ; implicit-def: $agpr6_agpr7
	s_waitcnt vmcnt(0) lgkmcnt(0)
	ds_read_b32 v5, v0
	ds_read_b64 a[4:5], v0
	v_not_b32_sdwa v6, v7 dst_sel:DWORD dst_unused:UNUSED_PAD src0_sel:BYTE_0
	v_add_u32_sdwa v4, v7, v6 dst_sel:DWORD dst_unused:UNUSED_PAD src0_sel:BYTE_1 src1_sel:DWORD
	v_ashrrev_i32_e32 v10, 31, v4
	v_mul_lo_u32 v11, v25, v4
	v_mad_u64_u32 v[8:9], s[4:5], v24, v4, 0
	v_mul_lo_u32 v4, v24, v10
	s_waitcnt lgkmcnt(1)
	v_readfirstlane_b32 s20, v5
	v_add3_u32 v4, v9, v4, v11
	v_cmp_ne_u32_sdwa s[4:5], v7, v5 src0_sel:BYTE_0 src1_sel:DWORD
                                        ; implicit-def: $vgpr10_vgpr11
	s_and_saveexec_b64 s[6:7], s[4:5]
	s_xor_b64 s[4:5], exec, s[6:7]
	s_cbranch_execz .LBB2_6
; %bb.1:
	v_cmp_ne_u32_sdwa s[6:7], v7, v5 src0_sel:BYTE_1 src1_sel:DWORD
                                        ; implicit-def: $vgpr10_vgpr11
                                        ; implicit-def: $agpr6_agpr7
	s_and_saveexec_b64 s[10:11], s[6:7]
	s_xor_b64 s[6:7], exec, s[10:11]
	s_cbranch_execz .LBB2_3
; %bb.2:
	flat_load_dwordx2 v[10:11], v[2:3] offset:96
	v_add_u32_e32 v5, v5, v6
	v_ashrrev_i32_e32 v6, 31, v5
	v_mul_lo_u32 v6, v24, v6
	v_mul_lo_u32 v7, v25, v5
	v_mad_u64_u32 v[12:13], s[10:11], v24, v5, v[22:23]
	v_add3_u32 v13, v7, v13, v6
	v_accvgpr_write_b32 a6, v12
	v_accvgpr_write_b32 a7, v13
	s_waitcnt vmcnt(0) lgkmcnt(0)
	v_lshrrev_b64 v[10:11], 17, v[10:11]
.LBB2_3:
	s_andn2_saveexec_b64 s[6:7], s[6:7]
	s_cbranch_execz .LBB2_5
; %bb.4:
	flat_load_dword v5, v[2:3] offset:100
	v_add_co_u32_e32 v6, vcc, v8, v22
	v_addc_co_u32_e32 v7, vcc, v4, v23, vcc
	v_accvgpr_write_b32 a6, v6
	v_accvgpr_write_b32 a7, v7
	v_pk_mov_b32 v[24:25], v[0:1], v[0:1] op_sel:[0,1]
	s_waitcnt vmcnt(0) lgkmcnt(0)
	v_lshrrev_b32_e32 v10, 6, v5
.LBB2_5:
	s_or_b64 exec, exec, s[6:7]
.LBB2_6:
	s_andn2_saveexec_b64 s[4:5], s[4:5]
	s_cbranch_execz .LBB2_8
; %bb.7:
	flat_load_dwordx2 v[6:7], v[2:3] offset:96
	v_pk_mov_b32 v[10:11], 0, 0
	v_accvgpr_write_b32 a6, v10
	v_accvgpr_write_b32 a7, v11
	v_pk_mov_b32 v[24:25], v[22:23], v[22:23] op_sel:[0,1]
	s_waitcnt vmcnt(0) lgkmcnt(0)
	v_lshlrev_b64 v[10:11], 4, v[6:7]
.LBB2_8:
	s_or_b64 exec, exec, s[4:5]
	flat_load_ushort v7, v[2:3] offset:8
	flat_load_dword v6, v[2:3] offset:4
	s_load_dword s4, s[8:9], 0x0
	flat_load_dwordx4 a[8:11], v[2:3] offset:16
	v_mov_b32_e32 v3, 0
	v_ashrrev_i32_e32 v45, 31, v44
	v_lshrrev_b32_e32 v2, 26, v45
	s_waitcnt lgkmcnt(0)
	s_cmp_lt_u32 s12, s4
	s_cselect_b32 s4, 12, 18
	s_add_u32 s4, s8, s4
	s_addc_u32 s5, s9, 0
	global_load_ushort v9, v3, s[4:5]
	v_add_u32_e32 v5, v44, v2
	s_trap 2
	ds_read_b32 v2, v0
	v_and_b32_e32 v5, 0xffffffc0, v5
	v_sub_u32_e32 v5, v44, v5
	s_mov_b32 s6, 0
	v_pk_mov_b32 v[18:19], 0, 0
	s_waitcnt lgkmcnt(0)
	v_cmp_gt_i32_e32 vcc, 0, v2
	v_readfirstlane_b32 s8, v2
	s_and_b64 vcc, exec, vcc
	v_cmp_eq_u32_e64 s[4:5], 0, v5
	s_waitcnt vmcnt(0)
	v_lshrrev_b64 v[6:7], 31, v[6:7]
	v_and_b32_e32 v6, 3, v6
	s_cbranch_vccnz .LBB2_10
; %bb.9:
	s_trap 2
	ds_read_b64 v[12:13], v0
	v_lshlrev_b64 v[2:3], 3, v[2:3]
	v_and_b32_e32 v7, 0xffff, v6
	s_movk_i32 s6, 0xa8
	s_waitcnt lgkmcnt(0)
	v_add_co_u32_e32 v2, vcc, v12, v2
	v_addc_co_u32_e32 v3, vcc, v13, v3, vcc
	flat_load_dwordx2 v[2:3], v[2:3]
	s_waitcnt vmcnt(0) lgkmcnt(0)
	v_mad_u64_u32 v[2:3], s[6:7], v7, s6, v[2:3]
	flat_load_dwordx2 a[16:17], v[2:3] offset:504
	flat_load_dwordx2 v[34:35], v[2:3] offset:608
	v_add_co_u32_e32 v2, vcc, 0x1f8, v2
	v_addc_co_u32_e32 v3, vcc, 0, v3, vcc
	v_cndmask_b32_e64 v27, 0, v3, s[4:5]
	v_cndmask_b32_e64 v26, 0, v2, s[4:5]
	s_mov_b32 s6, 1
	s_branch .LBB2_11
.LBB2_10:
	v_pk_mov_b32 v[26:27], v[18:19], v[18:19] op_sel:[0,1]
                                        ; implicit-def: $vgpr34_vgpr35
                                        ; implicit-def: $agpr16_agpr17
.LBB2_11:
	s_trap 2
	ds_read_b32 v2, v0
	s_waitcnt lgkmcnt(0)
	v_cmp_gt_i32_e32 vcc, 0, v2
	s_cbranch_vccnz .LBB2_13
; %bb.12:
	s_trap 2
	ds_read_b64 v[12:13], v0
	v_mov_b32_e32 v3, 0
	v_lshlrev_b64 v[2:3], 3, v[2:3]
	v_and_b32_e32 v6, 0xffff, v6
	s_movk_i32 s4, 0xa8
	s_waitcnt lgkmcnt(0)
	v_add_co_u32_e32 v2, vcc, v12, v2
	v_addc_co_u32_e32 v3, vcc, v13, v3, vcc
	flat_load_dwordx2 v[2:3], v[2:3]
	v_cmp_eq_u32_e32 vcc, 0, v5
	s_waitcnt vmcnt(0) lgkmcnt(0)
	v_mad_u64_u32 v[2:3], s[4:5], v6, s4, v[2:3]
	flat_load_dwordx2 a[18:19], v[2:3]
	flat_load_dwordx2 v[16:17], v[2:3] offset:104
	v_cndmask_b32_e32 v19, 0, v3, vcc
	v_cndmask_b32_e32 v18, 0, v2, vcc
	s_branch .LBB2_14
.LBB2_13:
                                        ; implicit-def: $vgpr16_vgpr17
                                        ; implicit-def: $agpr18_agpr19
.LBB2_14:
	v_subrev_u32_e32 v2, 64, v20
	v_pk_mov_b32 v[12:13], 0, 0
	v_cmp_le_i32_e32 vcc, v2, v44
	v_cmp_gt_i32_e64 s[4:5], s6, v5
	v_accvgpr_write_b32 a21, v13
	s_and_b64 s[22:23], vcc, s[4:5]
	v_accvgpr_write_b32 a20, v12
                                        ; implicit-def: $vgpr38_vgpr39
	s_and_saveexec_b64 s[4:5], s[22:23]
	s_cbranch_execz .LBB2_16
; %bb.15:
	flat_load_dwordx2 a[20:21], v[26:27] offset:56
	flat_load_dwordx2 v[38:39], v[26:27] offset:104
.LBB2_16:
	s_or_b64 exec, exec, s[4:5]
	v_cmp_gt_i32_e64 s[4:5], s6, v44
	v_pk_mov_b32 v[50:51], v[12:13], v[12:13] op_sel:[0,1]
                                        ; implicit-def: $vgpr52_vgpr53
	s_and_saveexec_b64 s[6:7], s[4:5]
	s_cbranch_execz .LBB2_18
; %bb.17:
	flat_load_dwordx2 v[50:51], v[18:19] offset:56
	s_waitcnt vmcnt(0) lgkmcnt(0)
	flat_load_dwordx2 v[52:53], v[50:51] glc
	s_waitcnt vmcnt(0)
	flat_load_dwordx4 v[12:15], v[18:19] offset:96
.LBB2_18:
	s_or_b64 exec, exec, s[6:7]
	v_cmp_ne_u64_e32 vcc, 0, v[24:25]
	v_pk_mov_b32 v[42:43], 0, 0
	s_and_saveexec_b64 s[24:25], vcc
	s_cbranch_execz .LBB2_596
; %bb.19:
	v_add_co_u32_e32 v0, vcc, v0, v22
	s_ashr_i32 s6, s8, 31
	v_addc_co_u32_e32 v1, vcc, v1, v23, vcc
	s_lshr_b32 s6, s6, 29
	v_add_co_u32_e32 v0, vcc, v0, v8
	s_ashr_i32 s21, s20, 31
	s_add_i32 s8, s8, s6
	v_accvgpr_write_b32 a22, v0
	v_addc_co_u32_e32 v0, vcc, v1, v4, vcc
	s_lshl_b64 s[6:7], s[20:21], 2
	v_accvgpr_read_b32 v2, a4
	v_accvgpr_write_b32 a23, v0
	v_mov_b32_e32 v0, s7
	v_accvgpr_read_b32 v3, a5
	v_add_co_u32_e32 v1, vcc, s6, v2
	v_addc_co_u32_e32 v0, vcc, v3, v0, vcc
	v_add_co_u32_e32 v2, vcc, -4, v1
	v_addc_co_u32_e32 v3, vcc, -1, v0, vcc
	v_and_b32_e32 v0, 63, v31
	v_ashrrev_i32_e32 v21, 31, v20
	v_cmp_eq_u32_e64 s[12:13], 0, v0
	v_lshrrev_b32_e32 v0, 26, v21
	v_add_u32_e32 v0, v20, v0
	v_ashrrev_i32_e32 v0, 6, v0
	v_accvgpr_write_b32 a25, v3
	v_ashrrev_i32_e32 v1, 31, v0
	v_accvgpr_write_b32 a24, v2
	v_accvgpr_write_b32 a26, v0
	;; [unrolled: 1-line block ×3, first 2 shown]
	v_accvgpr_read_b32 v0, a8
	v_lshlrev_b32_e32 v4, 3, v44
	v_accvgpr_read_b32 v2, a10
	v_ashrrev_i32_e32 v5, 31, v4
	v_accvgpr_read_b32 v3, a11
	v_add_co_u32_e32 v6, vcc, v2, v4
	v_addc_co_u32_e32 v7, vcc, v3, v5, vcc
	v_accvgpr_read_b32 v1, a9
	v_add_co_u32_e32 v0, vcc, v0, v4
	v_accvgpr_write_b32 a32, v0
	v_addc_co_u32_e32 v0, vcc, v1, v5, vcc
	v_accvgpr_write_b32 a33, v0
	v_accvgpr_read_b32 v0, a6
	v_accvgpr_read_b32 v1, a7
	v_add_co_u32_e32 v0, vcc, v6, v0
	s_waitcnt vmcnt(0) lgkmcnt(0)
	v_accvgpr_read_b32 v2, a20
	v_addc_co_u32_e32 v1, vcc, v7, v1, vcc
	v_accvgpr_read_b32 v3, a21
	v_accvgpr_write_b32 a35, v1
	s_ashr_i32 s10, s8, 3
	v_cmp_ne_u64_e64 s[14:15], 0, v[2:3]
	v_accvgpr_write_b32 a34, v0
	v_lshlrev_b64 v[0:1], 4, v[44:45]
	v_accvgpr_read_b32 v2, a18
	v_and_b32_e32 v36, 0x1fffff0, v10
	v_mov_b32_e32 v41, 0
	s_ashr_i32 s58, s8, 7
	s_and_b32 s21, s10, -16
	v_accvgpr_read_b32 v3, a19
	v_add_co_u32_e32 v0, vcc, v2, v0
	v_accvgpr_write_b32 a14, v26
	v_accvgpr_write_b32 a12, v18
	v_mov_b32_e32 v37, v41
	v_lshlrev_b32_e32 v56, 3, v20
	s_cmp_gt_i32 s20, 2
	v_accvgpr_write_b32 a37, v0
	v_addc_co_u32_e32 v0, vcc, v3, v1, vcc
	v_pk_mov_b32 v[54:55], 0, 0
	v_accvgpr_write_b32 a2, v24
	v_accvgpr_write_b32 a8, v36
	;; [unrolled: 1-line block ×4, first 2 shown]
	s_mov_b64 s[26:27], 0
	v_cmp_ne_u64_e64 s[6:7], 0, v[50:51]
	v_cmp_ne_u64_e64 s[8:9], 0, v[12:13]
	v_cmp_ne_u32_e64 s[10:11], 64, v20
	v_accvgpr_write_b32 a1, v9
	v_cmp_ne_u32_sdwa s[28:29], v9, v20 src0_sel:WORD_0 src1_sel:DWORD
	v_accvgpr_write_b32 a0, v31
	s_cselect_b64 s[30:31], -1, 0
	v_accvgpr_write_b32 a28, v4
	v_accvgpr_write_b32 a29, v5
	;; [unrolled: 1-line block ×4, first 2 shown]
	v_lshlrev_b32_e32 v29, 6, v20
	v_accvgpr_write_b32 a38, v0
	s_movk_i32 s59, 0x2710
	s_mov_b64 s[34:35], 0x7ffffff8
	s_movk_i32 s60, 0xff
	s_movk_i32 s61, 0x80
	;; [unrolled: 1-line block ×3, first 2 shown]
	s_mov_b64 s[36:37], 0x7f800000
	s_mov_b64 s[38:39], 0x43e00001
	s_movk_i32 s63, 0x7a
	s_mov_b64 s[40:41], 0xffffff
	s_mov_b32 s64, 0xffffff
	s_mov_b32 s65, 0xc0c0500
	;; [unrolled: 1-line block ×5, first 2 shown]
	v_bfrev_b32_e32 v46, 60
	v_mov_b32_e32 v47, 0xffffff82
	v_mov_b32_e32 v30, 0x78
	;; [unrolled: 1-line block ×4, first 2 shown]
	v_ashrrev_i32_e32 v45, 31, v56
	v_lshlrev_b64 v[58:59], 4, v[20:21]
	v_pk_mov_b32 v[42:43], v[54:55], v[54:55] op_sel:[0,1]
	v_accvgpr_write_b32 a3, v25
	v_accvgpr_write_b32 a9, v37
	s_branch .LBB2_21
.LBB2_20:                               ;   in Loop: Header=BB2_21 Depth=1
	s_or_b64 exec, exec, s[16:17]
	v_add_co_u32_e32 v34, vcc, 1, v34
	v_addc_co_u32_e32 v35, vcc, 0, v35, vcc
	v_add_co_u32_e32 v54, vcc, v54, v36
	v_addc_co_u32_e32 v55, vcc, 0, v55, vcc
	v_cmp_ge_u64_e32 vcc, v[54:55], v[24:25]
	v_accvgpr_read_b32 v0, a34
	s_or_b64 s[26:27], vcc, s[26:27]
	v_accvgpr_read_b32 v1, a35
	v_add_co_u32_e32 v0, vcc, v0, v36
	v_addc_co_u32_e32 v1, vcc, 0, v1, vcc
	v_accvgpr_write_b32 a35, v1
	v_accvgpr_write_b32 a34, v0
	s_andn2_b64 exec, exec, s[26:27]
	s_cbranch_execz .LBB2_595
.LBB2_21:                               ; =>This Loop Header: Depth=1
                                        ;     Child Loop BB2_28 Depth 2
                                        ;     Child Loop BB2_45 Depth 2
	;; [unrolled: 1-line block ×5, first 2 shown]
                                        ;       Child Loop BB2_85 Depth 3
                                        ;       Child Loop BB2_101 Depth 3
	;; [unrolled: 1-line block ×3, first 2 shown]
                                        ;         Child Loop BB2_122 Depth 4
                                        ;       Child Loop BB2_330 Depth 3
                                        ;       Child Loop BB2_78 Depth 3
                                        ;     Child Loop BB2_347 Depth 2
                                        ;       Child Loop BB2_355 Depth 3
                                        ;     Child Loop BB2_582 Depth 2
	v_accvgpr_read_b32 v0, a24
	v_accvgpr_read_b32 v1, a25
	s_waitcnt vmcnt(0) lgkmcnt(0)
	flat_load_dword v2, v[0:1]
	v_sub_co_u32_e32 v0, vcc, v24, v54
	v_subb_co_u32_e32 v1, vcc, v25, v55, vcc
	v_cmp_lt_u64_e32 vcc, v[36:37], v[0:1]
	v_cndmask_b32_e32 v3, v0, v36, vcc
	v_lshl_add_u32 v0, v3, 1, 14
	v_and_b32_e32 v0, 0x7fffff0, v0
	v_accvgpr_write_b32 a39, v0
	s_and_saveexec_b64 s[16:17], s[6:7]
	s_cbranch_execz .LBB2_37
; %bb.22:                               ;   in Loop: Header=BB2_21 Depth=1
	v_add_co_u32_e32 v0, vcc, 1, v14
	v_addc_co_u32_e32 v1, vcc, 0, v15, vcc
	v_add_co_u32_e32 v4, vcc, 8, v52
	v_addc_co_u32_e32 v5, vcc, 0, v53, vcc
	v_cmp_lt_u64_e32 vcc, v[4:5], v[0:1]
	s_and_saveexec_b64 s[18:19], vcc
	s_cbranch_execz .LBB2_34
; %bb.23:                               ;   in Loop: Header=BB2_21 Depth=1
	s_sleep 1
	flat_load_dwordx2 v[52:53], v[50:51] glc
	v_cmp_eq_u32_e32 vcc, 0, v7
	s_and_saveexec_b64 s[42:43], vcc
	s_cbranch_execz .LBB2_33
; %bb.24:                               ;   in Loop: Header=BB2_21 Depth=1
	v_cndmask_b32_e64 v4, 0, 1, vcc
	s_mov_b64 s[44:45], 0
                                        ; implicit-def: $sgpr46_sgpr47
	s_branch .LBB2_28
.LBB2_25:                               ;   in Loop: Header=BB2_28 Depth=2
	s_or_b64 exec, exec, s[54:55]
	s_orn2_b64 s[52:53], s[52:53], exec
.LBB2_26:                               ;   in Loop: Header=BB2_28 Depth=2
	s_or_b64 exec, exec, s[50:51]
	s_xor_b64 vcc, s[52:53], -1
	s_andn2_b64 s[46:47], s[46:47], exec
	s_and_b64 vcc, vcc, exec
	s_or_b64 s[46:47], s[46:47], vcc
.LBB2_27:                               ;   in Loop: Header=BB2_28 Depth=2
	s_or_b64 exec, exec, s[48:49]
	s_and_b64 vcc, exec, s[46:47]
	s_or_b64 s[44:45], vcc, s[44:45]
	s_andn2_b64 exec, exec, s[44:45]
	s_cbranch_execz .LBB2_32
.LBB2_28:                               ;   Parent Loop BB2_21 Depth=1
                                        ; =>  This Inner Loop Header: Depth=2
	s_waitcnt vmcnt(0) lgkmcnt(0)
	v_add_co_u32_e32 v8, vcc, 8, v52
	v_addc_co_u32_e32 v9, vcc, 0, v53, vcc
	v_cmp_lt_u64_e32 vcc, v[8:9], v[0:1]
	v_mov_b32_e32 v7, 0
	s_or_b64 s[46:47], s[46:47], exec
	s_and_saveexec_b64 s[48:49], vcc
	s_cbranch_execz .LBB2_27
; %bb.29:                               ;   in Loop: Header=BB2_28 Depth=2
	s_sleep 1
	flat_load_dwordx2 v[52:53], v[50:51] glc
	v_add_u32_e32 v4, 1, v4
	v_cmp_eq_u32_e32 vcc, s59, v4
	s_mov_b64 s[52:53], -1
	v_mov_b32_e32 v7, 0
	s_and_saveexec_b64 s[50:51], vcc
	s_cbranch_execz .LBB2_26
; %bb.30:                               ;   in Loop: Header=BB2_28 Depth=2
	s_trap 2
	ds_read_b64 v[4:5], v0
	v_mov_b32_e32 v7, 0
	s_waitcnt vmcnt(0) lgkmcnt(0)
	flat_load_dword v5, v[4:5] glc
	s_waitcnt vmcnt(0) lgkmcnt(0)
	buffer_invl2
	buffer_wbinvl1_vol
	v_mov_b32_e32 v4, 0
	v_cmp_ne_u32_e32 vcc, 0, v5
	s_and_saveexec_b64 s[54:55], vcc
	s_cbranch_execz .LBB2_25
; %bb.31:                               ;   in Loop: Header=BB2_28 Depth=2
	v_mov_b32_e32 v7, 1
	s_xor_b64 s[52:53], exec, -1
	ds_write_b32 v0, v5
	s_trap 2
	s_branch .LBB2_25
.LBB2_32:                               ;   in Loop: Header=BB2_21 Depth=1
	s_or_b64 exec, exec, s[44:45]
.LBB2_33:                               ;   in Loop: Header=BB2_21 Depth=1
	s_or_b64 exec, exec, s[42:43]
.LBB2_34:                               ;   in Loop: Header=BB2_21 Depth=1
	s_or_b64 exec, exec, s[18:19]
	s_and_saveexec_b64 s[18:19], s[8:9]
	s_cbranch_execz .LBB2_36
; %bb.35:                               ;   in Loop: Header=BB2_21 Depth=1
	v_and_b32_e32 v40, 0x7ffffff8, v14
	v_mov_b32_e32 v4, s21
	v_cmp_eq_u64_e32 vcc, s[34:35], v[40:41]
	v_accvgpr_read_b32 v5, a39
	v_cndmask_b32_e32 v4, v5, v4, vcc
	v_and_b32_e32 v8, 7, v14
	v_ashrrev_i32_e32 v5, 31, v4
	v_mad_u64_u32 v[8:9], vcc, v8, 24, v[12:13]
	flat_store_dwordx2 v[8:9], v[4:5] offset:8
	s_waitcnt vmcnt(0)
.LBB2_36:                               ;   in Loop: Header=BB2_21 Depth=1
	s_or_b64 exec, exec, s[18:19]
	v_pk_mov_b32 v[14:15], v[0:1], v[0:1] op_sel:[0,1]
.LBB2_37:                               ;   in Loop: Header=BB2_21 Depth=1
	s_or_b64 exec, exec, s[16:17]
	s_and_saveexec_b64 s[16:17], s[10:11]
	s_cbranch_execz .LBB2_56
; %bb.38:                               ;   in Loop: Header=BB2_21 Depth=1
	s_and_saveexec_b64 s[18:19], s[28:29]
	s_xor_b64 s[18:19], exec, s[18:19]
	s_cbranch_execz .LBB2_53
; %bb.39:                               ;   in Loop: Header=BB2_21 Depth=1
	s_and_saveexec_b64 s[42:43], s[12:13]
	s_cbranch_execz .LBB2_52
; %bb.40:                               ;   in Loop: Header=BB2_21 Depth=1
	s_mov_b64 s[46:47], exec
	v_mbcnt_lo_u32_b32 v0, s46, 0
	v_mbcnt_hi_u32_b32 v0, s47, v0
	v_cmp_eq_u32_e32 vcc, 0, v0
	s_waitcnt vmcnt(0) lgkmcnt(0)
	buffer_wbinvl1_vol
	s_and_saveexec_b64 s[44:45], vcc
	s_cbranch_execz .LBB2_42
; %bb.41:                               ;   in Loop: Header=BB2_21 Depth=1
	s_bcnt1_i32_b64 vcc_lo, s[46:47]
	v_mov_b32_e32 v40, vcc_lo
	ds_add_u64 v0, v[40:41]
	s_trap 2
.LBB2_42:                               ;   in Loop: Header=BB2_21 Depth=1
	s_or_b64 exec, exec, s[44:45]
	s_trap 2
	ds_read_b64 v[0:1], v0
	v_accvgpr_read_b32 v4, a26
	v_add_co_u32_e32 v42, vcc, v42, v4
	v_accvgpr_read_b32 v5, a27
	v_addc_co_u32_e32 v43, vcc, v43, v5, vcc
	s_waitcnt lgkmcnt(0)
	v_cmp_lt_u64_e32 vcc, v[0:1], v[42:43]
	s_and_saveexec_b64 s[44:45], vcc
	s_cbranch_execz .LBB2_51
; %bb.43:                               ;   in Loop: Header=BB2_21 Depth=1
	s_mov_b32 s56, 0
	s_mov_b64 s[46:47], 0
                                        ; implicit-def: $sgpr48_sgpr49
                                        ; implicit-def: $sgpr50_sgpr51
	s_branch .LBB2_45
.LBB2_44:                               ;   in Loop: Header=BB2_45 Depth=2
	s_or_b64 exec, exec, s[54:55]
	s_and_b64 vcc, exec, vcc
	s_or_b64 s[46:47], vcc, s[46:47]
	s_andn2_b64 vcc, s[48:49], exec
	s_and_b64 s[48:49], s[50:51], exec
	s_or_b64 s[48:49], vcc, s[48:49]
	s_andn2_b64 exec, exec, s[46:47]
	s_cbranch_execz .LBB2_49
.LBB2_45:                               ;   Parent Loop BB2_21 Depth=1
                                        ; =>  This Inner Loop Header: Depth=2
	s_add_i32 s56, s56, 1
	s_cmpk_lg_i32 s56, 0x2710
	s_cselect_b64 s[52:53], -1, 0
	s_and_b64 vcc, exec, s[52:53]
                                        ; implicit-def: $sgpr54_sgpr55
	s_cbranch_vccnz .LBB2_47
; %bb.46:                               ;   in Loop: Header=BB2_45 Depth=2
	s_trap 2
	ds_read_b64 v[0:1], v0
	s_andn2_b64 s[52:53], s[52:53], exec
	s_mov_b32 s56, 0
	s_mov_b64 s[54:55], -1
	s_waitcnt lgkmcnt(0)
	flat_load_dword v0, v[0:1] glc
	s_waitcnt vmcnt(0) lgkmcnt(0)
	buffer_invl2
	buffer_wbinvl1_vol
	v_cmp_eq_u32_e32 vcc, 0, v0
	s_and_b64 vcc, vcc, exec
	s_or_b64 s[52:53], s[52:53], vcc
.LBB2_47:                               ;   in Loop: Header=BB2_45 Depth=2
	s_andn2_b64 s[50:51], s[50:51], exec
	s_and_b64 s[54:55], s[54:55], exec
	s_mov_b64 vcc, -1
	s_or_b64 s[50:51], s[50:51], s[54:55]
	s_and_saveexec_b64 s[54:55], s[52:53]
	s_cbranch_execz .LBB2_44
; %bb.48:                               ;   in Loop: Header=BB2_45 Depth=2
	s_sleep 1
	s_trap 2
	ds_read_b64 v[0:1], v0
	s_andn2_b64 s[50:51], s[50:51], exec
	s_waitcnt lgkmcnt(0)
	v_cmp_ge_u64_e32 vcc, v[0:1], v[42:43]
	s_orn2_b64 vcc, vcc, exec
	s_branch .LBB2_44
.LBB2_49:                               ;   in Loop: Header=BB2_21 Depth=1
	s_or_b64 exec, exec, s[46:47]
	s_and_saveexec_b64 vcc, s[48:49]
	s_xor_b64 vcc, exec, vcc
	s_cbranch_execz .LBB2_51
; %bb.50:                               ;   in Loop: Header=BB2_21 Depth=1
	v_mov_b32_e32 v0, 1
	ds_write_b32 v0, v0
	s_trap 2
.LBB2_51:                               ;   in Loop: Header=BB2_21 Depth=1
	s_or_b64 exec, exec, s[44:45]
	;;#ASMSTART
	s_wakeup
	;;#ASMEND
.LBB2_52:                               ;   in Loop: Header=BB2_21 Depth=1
	s_or_b64 exec, exec, s[42:43]
.LBB2_53:                               ;   in Loop: Header=BB2_21 Depth=1
	s_andn2_saveexec_b64 s[18:19], s[18:19]
	s_cbranch_execz .LBB2_55
; %bb.54:                               ;   in Loop: Header=BB2_21 Depth=1
	s_waitcnt vmcnt(0) lgkmcnt(0)
	buffer_wbinvl1_vol
	s_barrier
.LBB2_55:                               ;   in Loop: Header=BB2_21 Depth=1
	s_or_b64 exec, exec, s[18:19]
.LBB2_56:                               ;   in Loop: Header=BB2_21 Depth=1
	s_or_b64 exec, exec, s[16:17]
	v_accvgpr_read_b32 v0, a28
	v_sub_u32_e32 v21, v3, v0
	v_cmp_lt_i32_e64 s[16:17], 0, v21
	v_and_b32_e32 v1, 7, v16
	v_mov_b32_e32 v0, v44
	s_and_saveexec_b64 s[18:19], s[16:17]
	s_cbranch_execz .LBB2_64
; %bb.57:                               ;   in Loop: Header=BB2_21 Depth=1
	v_accvgpr_read_b32 v22, a34
	s_waitcnt vmcnt(0) lgkmcnt(0)
	v_ashrrev_i32_e32 v0, 31, v2
	v_mov_b32_e32 v3, v16
	v_add_co_u32_e64 v8, vcc, 0, 0
	v_accvgpr_read_b32 v18, a22
	v_accvgpr_read_b32 v23, a35
	;; [unrolled: 1-line block ×3, first 2 shown]
	v_mul_lo_u32 v4, v1, s58
	v_addc_co_u32_e32 v3, vcc, 1, v3, vcc
	v_mad_u64_u32 v[10:11], vcc, v18, v2, v[22:23]
	v_mul_lo_u32 v9, v9, v2
	v_mul_lo_u32 v0, v18, v0
	v_ashrrev_i32_e32 v5, 31, v4
	v_add3_u32 v11, v9, v11, v0
	v_mul_lo_u32 v0, v18, v2
	v_add_lshl_u32 v9, v22, v0, 3
	v_lshlrev_b64 v[4:5], 4, v[4:5]
	v_accvgpr_read_b32 v0, a37
	v_add_co_u32_e32 v18, vcc, v0, v4
	v_accvgpr_read_b32 v0, a38
	v_addc_co_u32_e32 v19, vcc, v0, v5, vcc
	s_mov_b64 s[42:43], 0
	v_mov_b32_e32 v26, v21
	v_mov_b32_e32 v0, v44
	s_branch .LBB2_59
.LBB2_58:                               ;   in Loop: Header=BB2_59 Depth=2
	s_or_b64 exec, exec, s[44:45]
	v_add_co_u32_e32 v10, vcc, v10, v56
	s_waitcnt vmcnt(0)
	v_alignbit_b32 v2, v28, v2, v9
	v_alignbit_b32 v4, v27, v28, v9
	v_sub_u32_e32 v26, v26, v56
	v_addc_co_u32_e32 v11, vcc, v11, v45, vcc
	v_or_b32_e32 v2, v8, v2
	v_or_b32_e32 v4, v8, v4
	v_mov_b32_e32 v5, v3
	v_cmp_gt_i32_e32 vcc, 1, v26
	global_store_dwordx4 v[18:19], v[2:5], off
	s_or_b64 s[42:43], vcc, s[42:43]
	v_add_co_u32_e32 v18, vcc, v18, v58
	v_add_u32_e32 v0, v0, v20
	v_add_u32_e32 v9, v9, v29
	v_addc_co_u32_e32 v19, vcc, v19, v59, vcc
	s_andn2_b64 exec, exec, s[42:43]
	s_cbranch_execz .LBB2_63
.LBB2_59:                               ;   Parent Loop BB2_21 Depth=1
                                        ; =>  This Inner Loop Header: Depth=2
	v_and_b32_e32 v4, -4, v10
	v_mov_b32_e32 v5, v11
	global_load_dword v2, v[4:5], off glc slc
	v_min_u32_e32 v22, 8, v26
	v_and_b32_e32 v23, 3, v10
	v_add_co_u32_e32 v24, vcc, v23, v22
	v_addc_co_u32_e64 v25, vcc, 0, 0, vcc
	v_mov_b32_e32 v27, 0
	v_cmp_lt_u64_e32 vcc, 4, v[24:25]
	v_mov_b32_e32 v28, 0
	s_and_saveexec_b64 s[44:45], vcc
	s_cbranch_execz .LBB2_61
; %bb.60:                               ;   in Loop: Header=BB2_59 Depth=2
	global_load_dword v28, v[4:5], off offset:4 glc slc
.LBB2_61:                               ;   in Loop: Header=BB2_59 Depth=2
	s_or_b64 exec, exec, s[44:45]
	v_cmp_lt_u64_e32 vcc, 8, v[24:25]
	s_and_saveexec_b64 s[44:45], vcc
	s_cbranch_execz .LBB2_58
; %bb.62:                               ;   in Loop: Header=BB2_59 Depth=2
	global_load_dword v27, v[4:5], off offset:8 glc slc
	s_branch .LBB2_58
.LBB2_63:                               ;   in Loop: Header=BB2_21 Depth=1
	s_or_b64 exec, exec, s[42:43]
.LBB2_64:                               ;   in Loop: Header=BB2_21 Depth=1
	s_or_b64 exec, exec, s[18:19]
	v_and_b32_e32 v40, 0x7ffffff8, v16
	v_cmp_eq_u64_e32 vcc, s[34:35], v[40:41]
	v_cmp_gt_i32_e64 s[18:19], s58, v0
	s_and_b64 s[18:19], vcc, s[18:19]
	s_and_saveexec_b64 s[42:43], s[18:19]
	s_cbranch_execz .LBB2_67
; %bb.65:                               ;   in Loop: Header=BB2_21 Depth=1
	v_mul_lo_u32 v4, v1, s58
	v_mov_b32_e32 v1, v16
	s_waitcnt vmcnt(0) lgkmcnt(0)
	v_add_co_u32_e64 v2, vcc, 0, 0
	v_ashrrev_i32_e32 v5, 31, v4
	v_addc_co_u32_e32 v3, vcc, 1, v1, vcc
	v_ashrrev_i32_e32 v1, 31, v0
	v_lshlrev_b64 v[8:9], 4, v[0:1]
	v_lshlrev_b64 v[4:5], 4, v[4:5]
	v_add_co_u32_e32 v1, vcc, v8, v4
	v_addc_co_u32_e32 v4, vcc, v9, v5, vcc
	v_accvgpr_read_b32 v8, a18
	v_accvgpr_read_b32 v9, a19
	v_add_co_u32_e32 v10, vcc, v8, v1
	v_addc_co_u32_e32 v11, vcc, v9, v4, vcc
	s_mov_b64 s[44:45], 0
.LBB2_66:                               ;   Parent Loop BB2_21 Depth=1
                                        ; =>  This Inner Loop Header: Depth=2
	v_mov_b32_e32 v4, v2
	v_mov_b32_e32 v5, v3
	v_add_u32_e32 v0, v0, v20
	global_store_dwordx4 v[10:11], v[2:5], off
	v_cmp_le_i32_e32 vcc, s58, v0
	v_add_co_u32_e64 v10, s[18:19], v10, v58
	s_or_b64 s[44:45], vcc, s[44:45]
	v_addc_co_u32_e64 v11, vcc, v11, v59, s[18:19]
	s_andn2_b64 exec, exec, s[44:45]
	s_cbranch_execnz .LBB2_66
.LBB2_67:                               ;   in Loop: Header=BB2_21 Depth=1
	s_or_b64 exec, exec, s[42:43]
	v_accvgpr_read_b32 v0, a6
	v_accvgpr_read_b32 v1, a7
	s_waitcnt vmcnt(0) lgkmcnt(0)
	v_add_co_u32_e32 v2, vcc, v54, v0
	v_addc_co_u32_e32 v1, vcc, v55, v1, vcc
	v_add_co_u32_e64 v28, s[18:19], 1, v16
	v_accvgpr_write_b32 a40, v54
	v_accvgpr_write_b32 a36, v29
	s_andn2_b64 vcc, exec, s[30:31]
	v_addc_co_u32_e64 v29, s[18:19], 0, v17, s[18:19]
	v_accvgpr_write_b32 a41, v55
	s_cbranch_vccnz .LBB2_341
; %bb.68:                               ;   in Loop: Header=BB2_21 Depth=1
	v_accvgpr_read_b32 v0, a30
	v_accvgpr_write_b32 a42, v2
	v_add_co_u32_e32 v2, vcc, v0, v2
	v_accvgpr_read_b32 v0, a31
	v_addc_co_u32_e32 v3, vcc, v0, v1, vcc
	v_accvgpr_write_b32 a45, v3
	v_accvgpr_write_b32 a43, v1
	;; [unrolled: 1-line block ×3, first 2 shown]
	v_add_u16_e32 v54, 1, v16
	s_mov_b32 s69, 2
	s_branch .LBB2_70
.LBB2_69:                               ;   in Loop: Header=BB2_70 Depth=2
	s_or_b64 exec, exec, s[42:43]
	v_add_co_u32_e32 v34, vcc, 1, v34
	v_addc_co_u32_e32 v35, vcc, 0, v35, vcc
	s_add_i32 s69, s69, 1
	v_add_co_u32_e32 v28, vcc, 1, v28
	v_addc_co_u32_e32 v29, vcc, 0, v29, vcc
	s_cmp_eq_u32 s69, s20
	v_add_u16_e32 v54, 1, v54
	s_cbranch_scc1 .LBB2_342
.LBB2_70:                               ;   Parent Loop BB2_21 Depth=1
                                        ; =>  This Loop Header: Depth=2
                                        ;       Child Loop BB2_85 Depth 3
                                        ;       Child Loop BB2_101 Depth 3
	;; [unrolled: 1-line block ×3, first 2 shown]
                                        ;         Child Loop BB2_122 Depth 4
                                        ;       Child Loop BB2_330 Depth 3
                                        ;       Child Loop BB2_78 Depth 3
	s_sub_i32 s18, s20, s69
	s_ashr_i32 s19, s18, 31
	s_lshl_b64 s[18:19], s[18:19], 2
	s_waitcnt vmcnt(0) lgkmcnt(0)
	v_accvgpr_read_b32 v2, a4
	v_mov_b32_e32 v1, s19
	v_accvgpr_read_b32 v3, a5
	v_add_co_u32_e32 v0, vcc, s18, v2
	v_addc_co_u32_e32 v1, vcc, v3, v1, vcc
	flat_load_dword v2, v[0:1]
	s_and_saveexec_b64 s[18:19], s[6:7]
	s_cbranch_execnz .LBB2_79
; %bb.71:                               ;   in Loop: Header=BB2_70 Depth=2
	s_or_b64 exec, exec, s[18:19]
	s_and_saveexec_b64 s[18:19], s[10:11]
	s_cbranch_execnz .LBB2_94
.LBB2_72:                               ;   in Loop: Header=BB2_70 Depth=2
	s_or_b64 exec, exec, s[18:19]
	v_mov_b32_e32 v0, v44
	s_and_saveexec_b64 s[42:43], s[16:17]
	s_cbranch_execnz .LBB2_112
.LBB2_73:                               ;   in Loop: Header=BB2_70 Depth=2
	s_or_b64 exec, exec, s[42:43]
	s_and_saveexec_b64 s[18:19], s[10:11]
	s_cbranch_execnz .LBB2_323
.LBB2_74:                               ;   in Loop: Header=BB2_70 Depth=2
	s_or_b64 exec, exec, s[18:19]
	s_and_saveexec_b64 s[18:19], s[14:15]
	s_cbranch_execz .LBB2_76
.LBB2_75:                               ;   in Loop: Header=BB2_70 Depth=2
	v_add_co_u32_e32 v38, vcc, 1, v38
	s_waitcnt vmcnt(0) lgkmcnt(0)
	v_accvgpr_read_b32 v2, a20
	v_addc_co_u32_e32 v39, vcc, 0, v39, vcc
	v_accvgpr_read_b32 v3, a21
	flat_store_dwordx2 v[2:3], v[38:39]
.LBB2_76:                               ;   in Loop: Header=BB2_70 Depth=2
	s_or_b64 exec, exec, s[18:19]
	v_and_b32_e32 v40, 0x7ffffff8, v28
	v_cmp_eq_u64_e32 vcc, s[34:35], v[40:41]
	v_cmp_gt_i32_e64 s[18:19], s58, v0
	s_and_b64 s[18:19], vcc, s[18:19]
	s_and_saveexec_b64 s[42:43], s[18:19]
	s_cbranch_execz .LBB2_69
; %bb.77:                               ;   in Loop: Header=BB2_70 Depth=2
	v_and_b32_e32 v1, 7, v54
	s_waitcnt vmcnt(0) lgkmcnt(0)
	v_mul_lo_u32 v2, s58, v1
	v_ashrrev_i32_e32 v3, 31, v2
	v_lshlrev_b64 v[4:5], 4, v[2:3]
	v_mov_b32_e32 v1, v28
	v_add_co_u32_e64 v2, vcc, 0, 0
	v_addc_co_u32_e32 v3, vcc, 1, v1, vcc
	v_ashrrev_i32_e32 v1, 31, v0
	v_lshlrev_b64 v[8:9], 4, v[0:1]
	v_add_co_u32_e32 v1, vcc, v8, v4
	v_addc_co_u32_e32 v4, vcc, v9, v5, vcc
	v_accvgpr_read_b32 v8, a18
	v_accvgpr_read_b32 v9, a19
	v_add_co_u32_e32 v10, vcc, v8, v1
	v_addc_co_u32_e32 v11, vcc, v9, v4, vcc
	s_mov_b64 s[44:45], 0
.LBB2_78:                               ;   Parent Loop BB2_21 Depth=1
                                        ;     Parent Loop BB2_70 Depth=2
                                        ; =>    This Inner Loop Header: Depth=3
	v_mov_b32_e32 v4, v2
	v_mov_b32_e32 v5, v3
	v_add_u32_e32 v0, v0, v20
	global_store_dwordx4 v[10:11], v[2:5], off
	v_cmp_le_i32_e32 vcc, s58, v0
	v_add_co_u32_e64 v10, s[18:19], v10, v58
	s_or_b64 s[44:45], vcc, s[44:45]
	v_addc_co_u32_e64 v11, vcc, v11, v59, s[18:19]
	s_andn2_b64 exec, exec, s[44:45]
	s_cbranch_execnz .LBB2_78
	s_branch .LBB2_69
.LBB2_79:                               ;   in Loop: Header=BB2_70 Depth=2
	v_add_co_u32_e32 v0, vcc, 1, v14
	v_addc_co_u32_e32 v1, vcc, 0, v15, vcc
	v_add_co_u32_e32 v4, vcc, 8, v52
	v_addc_co_u32_e32 v5, vcc, 0, v53, vcc
	v_cmp_lt_u64_e32 vcc, v[4:5], v[0:1]
	s_and_saveexec_b64 s[42:43], vcc
	s_cbranch_execz .LBB2_91
; %bb.80:                               ;   in Loop: Header=BB2_70 Depth=2
	s_sleep 1
	flat_load_dwordx2 v[52:53], v[50:51] glc
	v_cmp_eq_u32_e32 vcc, 0, v7
	s_and_saveexec_b64 s[44:45], vcc
	s_cbranch_execz .LBB2_90
; %bb.81:                               ;   in Loop: Header=BB2_70 Depth=2
	v_cndmask_b32_e64 v3, 0, 1, vcc
	s_mov_b64 s[46:47], 0
                                        ; implicit-def: $sgpr48_sgpr49
	s_branch .LBB2_85
.LBB2_82:                               ;   in Loop: Header=BB2_85 Depth=3
	s_or_b64 exec, exec, s[56:57]
	s_orn2_b64 s[54:55], s[54:55], exec
.LBB2_83:                               ;   in Loop: Header=BB2_85 Depth=3
	s_or_b64 exec, exec, s[52:53]
	s_xor_b64 vcc, s[54:55], -1
	s_andn2_b64 s[48:49], s[48:49], exec
	s_and_b64 vcc, vcc, exec
	s_or_b64 s[48:49], s[48:49], vcc
.LBB2_84:                               ;   in Loop: Header=BB2_85 Depth=3
	s_or_b64 exec, exec, s[50:51]
	s_and_b64 vcc, exec, s[48:49]
	s_or_b64 s[46:47], vcc, s[46:47]
	s_andn2_b64 exec, exec, s[46:47]
	s_cbranch_execz .LBB2_89
.LBB2_85:                               ;   Parent Loop BB2_21 Depth=1
                                        ;     Parent Loop BB2_70 Depth=2
                                        ; =>    This Inner Loop Header: Depth=3
	s_waitcnt vmcnt(0) lgkmcnt(0)
	v_add_co_u32_e32 v4, vcc, 8, v52
	v_addc_co_u32_e32 v5, vcc, 0, v53, vcc
	v_cmp_lt_u64_e32 vcc, v[4:5], v[0:1]
	v_mov_b32_e32 v7, 0
	s_or_b64 s[48:49], s[48:49], exec
	s_and_saveexec_b64 s[50:51], vcc
	s_cbranch_execz .LBB2_84
; %bb.86:                               ;   in Loop: Header=BB2_85 Depth=3
	s_sleep 1
	flat_load_dwordx2 v[52:53], v[50:51] glc
	v_add_u32_e32 v3, 1, v3
	v_cmp_eq_u32_e32 vcc, s59, v3
	s_mov_b64 s[54:55], -1
	v_mov_b32_e32 v7, 0
	s_and_saveexec_b64 s[52:53], vcc
	s_cbranch_execz .LBB2_83
; %bb.87:                               ;   in Loop: Header=BB2_85 Depth=3
	s_trap 2
	ds_read_b64 v[4:5], v0
	v_mov_b32_e32 v3, 0
	v_mov_b32_e32 v7, 0
	s_waitcnt vmcnt(0) lgkmcnt(0)
	flat_load_dword v4, v[4:5] glc
	s_waitcnt vmcnt(0) lgkmcnt(0)
	buffer_invl2
	buffer_wbinvl1_vol
	v_cmp_ne_u32_e32 vcc, 0, v4
	s_and_saveexec_b64 s[56:57], vcc
	s_cbranch_execz .LBB2_82
; %bb.88:                               ;   in Loop: Header=BB2_85 Depth=3
	v_mov_b32_e32 v7, 1
	s_xor_b64 s[54:55], exec, -1
	ds_write_b32 v0, v4
	s_trap 2
	s_branch .LBB2_82
.LBB2_89:                               ;   in Loop: Header=BB2_70 Depth=2
	s_or_b64 exec, exec, s[46:47]
.LBB2_90:                               ;   in Loop: Header=BB2_70 Depth=2
	s_or_b64 exec, exec, s[44:45]
.LBB2_91:                               ;   in Loop: Header=BB2_70 Depth=2
	s_or_b64 exec, exec, s[42:43]
	s_and_saveexec_b64 s[42:43], s[8:9]
	s_cbranch_execz .LBB2_93
; %bb.92:                               ;   in Loop: Header=BB2_70 Depth=2
	v_and_b32_e32 v40, 0x7ffffff8, v14
	v_mov_b32_e32 v3, s21
	v_cmp_eq_u64_e32 vcc, s[34:35], v[40:41]
	v_accvgpr_read_b32 v4, a39
	v_cndmask_b32_e32 v4, v4, v3, vcc
	v_and_b32_e32 v3, 7, v14
	v_ashrrev_i32_e32 v5, 31, v4
	v_mad_u64_u32 v[8:9], vcc, v3, 24, v[12:13]
	flat_store_dwordx2 v[8:9], v[4:5] offset:8
	s_waitcnt vmcnt(0)
.LBB2_93:                               ;   in Loop: Header=BB2_70 Depth=2
	s_or_b64 exec, exec, s[42:43]
	v_pk_mov_b32 v[14:15], v[0:1], v[0:1] op_sel:[0,1]
	s_or_b64 exec, exec, s[18:19]
	s_and_saveexec_b64 s[18:19], s[10:11]
	s_cbranch_execz .LBB2_72
.LBB2_94:                               ;   in Loop: Header=BB2_70 Depth=2
	s_and_saveexec_b64 vcc, s[28:29]
	s_xor_b64 s[42:43], exec, vcc
	s_cbranch_execz .LBB2_109
; %bb.95:                               ;   in Loop: Header=BB2_70 Depth=2
	s_and_saveexec_b64 s[44:45], s[12:13]
	s_cbranch_execz .LBB2_108
; %bb.96:                               ;   in Loop: Header=BB2_70 Depth=2
	s_mov_b64 s[48:49], exec
	v_mbcnt_lo_u32_b32 v0, s48, 0
	v_mbcnt_hi_u32_b32 v0, s49, v0
	v_cmp_eq_u32_e32 vcc, 0, v0
	s_waitcnt vmcnt(0) lgkmcnt(0)
	buffer_wbinvl1_vol
	s_and_saveexec_b64 s[46:47], vcc
	s_cbranch_execz .LBB2_98
; %bb.97:                               ;   in Loop: Header=BB2_70 Depth=2
	s_bcnt1_i32_b64 vcc_lo, s[48:49]
	v_mov_b32_e32 v40, vcc_lo
	ds_add_u64 v0, v[40:41]
	s_trap 2
.LBB2_98:                               ;   in Loop: Header=BB2_70 Depth=2
	s_or_b64 exec, exec, s[46:47]
	s_trap 2
	ds_read_b64 v[0:1], v0
	v_accvgpr_read_b32 v4, a26
	v_add_co_u32_e32 v42, vcc, v42, v4
	v_accvgpr_read_b32 v3, a27
	v_addc_co_u32_e32 v43, vcc, v43, v3, vcc
	s_waitcnt lgkmcnt(0)
	v_cmp_lt_u64_e32 vcc, v[0:1], v[42:43]
	s_and_saveexec_b64 s[46:47], vcc
	s_cbranch_execz .LBB2_107
; %bb.99:                               ;   in Loop: Header=BB2_70 Depth=2
	s_mov_b32 s70, 0
	s_mov_b64 s[48:49], 0
                                        ; implicit-def: $sgpr50_sgpr51
                                        ; implicit-def: $sgpr52_sgpr53
	s_branch .LBB2_101
.LBB2_100:                              ;   in Loop: Header=BB2_101 Depth=3
	s_or_b64 exec, exec, s[56:57]
	s_and_b64 vcc, exec, vcc
	s_or_b64 s[48:49], vcc, s[48:49]
	s_andn2_b64 vcc, s[50:51], exec
	s_and_b64 s[50:51], s[52:53], exec
	s_or_b64 s[50:51], vcc, s[50:51]
	s_andn2_b64 exec, exec, s[48:49]
	s_cbranch_execz .LBB2_105
.LBB2_101:                              ;   Parent Loop BB2_21 Depth=1
                                        ;     Parent Loop BB2_70 Depth=2
                                        ; =>    This Inner Loop Header: Depth=3
	s_add_i32 s70, s70, 1
	s_cmpk_lg_i32 s70, 0x2710
	s_cselect_b64 s[54:55], -1, 0
	s_and_b64 vcc, exec, s[54:55]
                                        ; implicit-def: $sgpr56_sgpr57
	s_cbranch_vccnz .LBB2_103
; %bb.102:                              ;   in Loop: Header=BB2_101 Depth=3
	s_trap 2
	ds_read_b64 v[0:1], v0
	s_andn2_b64 s[54:55], s[54:55], exec
	s_mov_b32 s70, 0
	s_mov_b64 s[56:57], -1
	s_waitcnt lgkmcnt(0)
	flat_load_dword v0, v[0:1] glc
	s_waitcnt vmcnt(0) lgkmcnt(0)
	buffer_invl2
	buffer_wbinvl1_vol
	v_cmp_eq_u32_e32 vcc, 0, v0
	s_and_b64 vcc, vcc, exec
	s_or_b64 s[54:55], s[54:55], vcc
.LBB2_103:                              ;   in Loop: Header=BB2_101 Depth=3
	s_andn2_b64 s[52:53], s[52:53], exec
	s_and_b64 s[56:57], s[56:57], exec
	s_mov_b64 vcc, -1
	s_or_b64 s[52:53], s[52:53], s[56:57]
	s_and_saveexec_b64 s[56:57], s[54:55]
	s_cbranch_execz .LBB2_100
; %bb.104:                              ;   in Loop: Header=BB2_101 Depth=3
	s_sleep 1
	s_trap 2
	ds_read_b64 v[0:1], v0
	s_andn2_b64 s[52:53], s[52:53], exec
	s_waitcnt lgkmcnt(0)
	v_cmp_ge_u64_e32 vcc, v[0:1], v[42:43]
	s_orn2_b64 vcc, vcc, exec
	s_branch .LBB2_100
.LBB2_105:                              ;   in Loop: Header=BB2_70 Depth=2
	s_or_b64 exec, exec, s[48:49]
	s_and_saveexec_b64 vcc, s[50:51]
	s_xor_b64 vcc, exec, vcc
	s_cbranch_execz .LBB2_107
; %bb.106:                              ;   in Loop: Header=BB2_70 Depth=2
	v_mov_b32_e32 v0, 1
	ds_write_b32 v0, v0
	s_trap 2
.LBB2_107:                              ;   in Loop: Header=BB2_70 Depth=2
	s_or_b64 exec, exec, s[46:47]
	;;#ASMSTART
	s_wakeup
	;;#ASMEND
.LBB2_108:                              ;   in Loop: Header=BB2_70 Depth=2
	s_or_b64 exec, exec, s[44:45]
.LBB2_109:                              ;   in Loop: Header=BB2_70 Depth=2
	s_andn2_saveexec_b64 vcc, s[42:43]
	s_cbranch_execz .LBB2_111
; %bb.110:                              ;   in Loop: Header=BB2_70 Depth=2
	s_waitcnt vmcnt(0) lgkmcnt(0)
	buffer_wbinvl1_vol
	s_barrier
.LBB2_111:                              ;   in Loop: Header=BB2_70 Depth=2
	s_or_b64 exec, exec, vcc
	s_or_b64 exec, exec, s[18:19]
	v_mov_b32_e32 v0, v44
	s_and_saveexec_b64 s[42:43], s[16:17]
	s_cbranch_execz .LBB2_73
.LBB2_112:                              ;   in Loop: Header=BB2_70 Depth=2
	v_accvgpr_read_b32 v4, a44
	s_waitcnt vmcnt(0) lgkmcnt(0)
	v_ashrrev_i32_e32 v0, 31, v2
	v_accvgpr_read_b32 v3, a22
	v_accvgpr_read_b32 v5, a45
	;; [unrolled: 1-line block ×3, first 2 shown]
	v_mad_u64_u32 v[10:11], s[18:19], v3, v2, v[4:5]
	v_mul_lo_u32 v1, v1, v2
	v_mul_lo_u32 v0, v3, v0
	v_add3_u32 v11, v1, v11, v0
	v_and_b32_e32 v0, 7, v34
	v_mul_lo_u32 v0, v0, s58
	v_ashrrev_i32_e32 v1, 31, v0
	v_lshlrev_b64 v[0:1], 4, v[0:1]
	v_accvgpr_read_b32 v2, a16
	v_add_co_u32_e32 v55, vcc, v2, v0
	v_and_b32_e32 v0, 7, v28
	v_accvgpr_read_b32 v3, a17
	v_mul_lo_u32 v0, v0, s58
	v_addc_co_u32_e32 v57, vcc, v3, v1, vcc
	v_ashrrev_i32_e32 v1, 31, v0
	v_lshlrev_b64 v[0:1], 4, v[0:1]
	v_accvgpr_read_b32 v2, a18
	v_accvgpr_read_b32 v3, a19
	v_add_co_u32_e32 v49, vcc, v2, v0
	v_addc_co_u32_e32 v31, vcc, v3, v1, vcc
	v_mov_b32_e32 v1, v28
	v_add_co_u32_e64 v8, vcc, 0, 0
	v_add_u32_e32 v48, 1, v34
	v_addc_co_u32_e32 v3, vcc, 1, v1, vcc
	s_mov_b64 s[44:45], 0
	v_mov_b32_e32 v9, v21
	v_mov_b32_e32 v0, v44
	s_branch .LBB2_114
.LBB2_113:                              ;   in Loop: Header=BB2_114 Depth=3
	s_or_b64 exec, exec, s[18:19]
	v_lshlrev_b32_e32 v17, 8, v32
	v_add_co_u32_e32 v10, vcc, v10, v56
	v_perm_b32 v1, v17, v1, s65
	v_lshlrev_b32_e32 v17, 8, v25
	v_addc_co_u32_e32 v11, vcc, v11, v45, vcc
	v_lshlrev_b32_e32 v18, 24, v16
	v_perm_b32 v16, v17, v19, s65
	v_and_b32_e32 v2, 0xff, v33
	v_lshl_or_b32 v19, v60, 16, v16
	v_add_co_u32_e32 v16, vcc, v49, v4
	v_lshlrev_b32_e32 v2, 16, v2
	v_addc_co_u32_e32 v17, vcc, v31, v5, vcc
	v_sub_u32_e32 v9, v9, v56
	v_lshl_or_b32 v2, v24, 24, v2
	v_cmp_gt_i32_e32 vcc, 1, v9
	v_or3_b32 v2, v2, v1, v8
	v_or3_b32 v4, v18, v19, v8
	v_mov_b32_e32 v5, v3
	s_or_b64 s[44:45], vcc, s[44:45]
	v_add_u32_e32 v0, v0, v20
	global_store_dwordx4 v[16:17], v[2:5], off
	s_andn2_b64 exec, exec, s[44:45]
	s_cbranch_execz .LBB2_322
.LBB2_114:                              ;   Parent Loop BB2_21 Depth=1
                                        ;     Parent Loop BB2_70 Depth=2
                                        ; =>    This Loop Header: Depth=3
                                        ;         Child Loop BB2_122 Depth 4
	v_and_b32_e32 v4, -4, v10
	v_mov_b32_e32 v5, v11
	global_load_dword v2, v[4:5], off glc slc
	v_min_u32_e32 v1, 8, v9
	v_and_b32_e32 v16, 3, v10
	v_add_co_u32_e32 v16, vcc, v16, v1
	v_addc_co_u32_e64 v17, s[18:19], 0, 0, vcc
	v_mov_b32_e32 v60, 0
	v_cmp_lt_u64_e32 vcc, 4, v[16:17]
	v_mov_b32_e32 v61, 0
	s_and_saveexec_b64 s[18:19], vcc
	s_cbranch_execz .LBB2_116
; %bb.115:                              ;   in Loop: Header=BB2_114 Depth=3
	global_load_dword v61, v[4:5], off offset:4 glc slc
.LBB2_116:                              ;   in Loop: Header=BB2_114 Depth=3
	s_or_b64 exec, exec, s[18:19]
	v_cmp_lt_u64_e32 vcc, 8, v[16:17]
	s_and_saveexec_b64 s[18:19], vcc
	s_cbranch_execz .LBB2_118
; %bb.117:                              ;   in Loop: Header=BB2_114 Depth=3
	global_load_dword v60, v[4:5], off offset:8 glc slc
.LBB2_118:                              ;   in Loop: Header=BB2_114 Depth=3
	s_or_b64 exec, exec, s[18:19]
	v_ashrrev_i32_e32 v1, 31, v0
	v_lshlrev_b64 v[4:5], 4, v[0:1]
	v_add_co_u32_e32 v24, vcc, v55, v4
	v_addc_co_u32_e32 v25, vcc, v57, v5, vcc
	global_load_dwordx4 v[16:19], v[24:25], off glc slc
	v_cmp_eq_u32_e32 vcc, 0, v7
	s_and_saveexec_b64 s[46:47], vcc
	s_cbranch_execz .LBB2_130
; %bb.119:                              ;   in Loop: Header=BB2_114 Depth=3
	s_waitcnt vmcnt(0)
	v_cmp_ne_u32_e32 vcc, v48, v17
	v_cmp_ne_u32_e64 s[18:19], v48, v19
	s_or_b64 s[18:19], vcc, s[18:19]
	v_mov_b32_e32 v7, 0
	s_and_saveexec_b64 s[48:49], s[18:19]
	s_cbranch_execz .LBB2_129
; %bb.120:                              ;   in Loop: Header=BB2_114 Depth=3
	s_mov_b32 s54, 1
	s_mov_b64 s[50:51], 0
	v_mov_b32_e32 v7, 0
	s_branch .LBB2_122
.LBB2_121:                              ;   in Loop: Header=BB2_122 Depth=4
	s_or_b64 exec, exec, s[52:53]
	s_and_b64 s[18:19], exec, s[18:19]
	s_or_b64 s[50:51], s[18:19], s[50:51]
	s_andn2_b64 exec, exec, s[50:51]
	s_cbranch_execz .LBB2_128
.LBB2_122:                              ;   Parent Loop BB2_21 Depth=1
                                        ;     Parent Loop BB2_70 Depth=2
                                        ;       Parent Loop BB2_114 Depth=3
                                        ; =>      This Inner Loop Header: Depth=4
	global_load_dwordx4 v[16:19], v[24:25], off glc slc
	s_add_i32 s54, s54, 1
	s_cmpk_lg_i32 s54, 0x2710
	s_cbranch_scc1 .LBB2_126
; %bb.123:                              ;   in Loop: Header=BB2_122 Depth=4
	s_trap 2
	ds_read_b64 v[26:27], v0
	s_waitcnt vmcnt(0) lgkmcnt(0)
	flat_load_dword v1, v[26:27] glc
	s_waitcnt vmcnt(0) lgkmcnt(0)
	buffer_invl2
	buffer_wbinvl1_vol
	v_cmp_ne_u32_e32 vcc, 0, v1
	s_and_saveexec_b64 s[18:19], vcc
	s_cbranch_execz .LBB2_125
; %bb.124:                              ;   in Loop: Header=BB2_122 Depth=4
	v_mov_b32_e32 v7, 1
	ds_write_b32 v0, v1
	s_trap 2
.LBB2_125:                              ;   in Loop: Header=BB2_122 Depth=4
	s_or_b64 exec, exec, s[18:19]
	s_mov_b32 s54, 0
	v_mov_b32_e32 v1, v7
	v_cmp_eq_u32_e32 vcc, 0, v1
	s_mov_b64 s[18:19], -1
	s_and_saveexec_b64 s[52:53], vcc
	s_cbranch_execz .LBB2_121
	s_branch .LBB2_127
.LBB2_126:                              ;   in Loop: Header=BB2_122 Depth=4
	v_mov_b32_e32 v1, 0
	v_cmp_eq_u32_e32 vcc, 0, v1
	s_mov_b64 s[18:19], -1
	s_and_saveexec_b64 s[52:53], vcc
	s_cbranch_execz .LBB2_121
.LBB2_127:                              ;   in Loop: Header=BB2_122 Depth=4
	s_waitcnt vmcnt(0)
	v_cmp_eq_u32_e32 vcc, v48, v17
	v_cmp_eq_u32_e64 s[18:19], v48, v19
	s_and_b64 s[18:19], vcc, s[18:19]
	s_orn2_b64 s[18:19], s[18:19], exec
	s_branch .LBB2_121
.LBB2_128:                              ;   in Loop: Header=BB2_114 Depth=3
	s_or_b64 exec, exec, s[50:51]
.LBB2_129:                              ;   in Loop: Header=BB2_114 Depth=3
	s_or_b64 exec, exec, s[48:49]
.LBB2_130:                              ;   in Loop: Header=BB2_114 Depth=3
	s_or_b64 exec, exec, s[46:47]
	s_waitcnt vmcnt(0)
	v_cmp_ne_u16_sdwa vcc, v16, v41 src0_sel:BYTE_0 src1_sel:DWORD
	v_mov_b32_e32 v1, 0
	v_mov_b32_e32 v24, 0
	s_and_saveexec_b64 s[18:19], vcc
	s_cbranch_execz .LBB2_136
; %bb.131:                              ;   in Loop: Header=BB2_114 Depth=3
	v_cmp_ne_u16_sdwa vcc, v16, s61 src0_sel:BYTE_0 src1_sel:DWORD
	v_bfrev_b32_e32 v24, 1
	s_and_saveexec_b64 s[46:47], vcc
	s_cbranch_execz .LBB2_135
; %bb.132:                              ;   in Loop: Header=BB2_114 Depth=3
	v_and_b32_e32 v25, 0x7f, v16
	v_cmp_ne_u32_e32 vcc, s62, v25
	v_mov_b32_e32 v24, 0x7f800001
	s_and_saveexec_b64 s[48:49], vcc
	s_cbranch_execz .LBB2_134
; %bb.133:                              ;   in Loop: Header=BB2_114 Depth=3
	v_and_b32_e32 v22, 7, v16
	v_ffbh_u32_e32 v22, v22
	v_min_u32_e32 v22, 32, v22
	v_lshrrev_b32_e32 v23, 3, v25
	v_subrev_u32_e32 v24, 28, v22
	v_sub_u32_e32 v22, 29, v22
	v_cmp_gt_u32_e32 vcc, 8, v25
	v_cndmask_b32_e32 v22, v23, v22, vcc
	v_cndmask_b32_e32 v23, 0, v24, vcc
	v_lshlrev_b64 v[24:25], v23, v[16:17]
	v_lshlrev_b32_e32 v17, 20, v24
	v_lshlrev_b32_e32 v23, 24, v16
	v_and_b32_e32 v17, 0x700000, v17
	v_and_b32_e32 v23, 0x80000000, v23
	v_lshl_add_u32 v22, v22, 23, v46
	v_or3_b32 v24, v23, v22, v17
.LBB2_134:                              ;   in Loop: Header=BB2_114 Depth=3
	s_or_b64 exec, exec, s[48:49]
.LBB2_135:                              ;   in Loop: Header=BB2_114 Depth=3
	s_or_b64 exec, exec, s[46:47]
.LBB2_136:                              ;   in Loop: Header=BB2_114 Depth=3
	s_or_b64 exec, exec, s[18:19]
	v_lshlrev_b32_e32 v62, 3, v10
	v_alignbit_b32 v40, v61, v2, v62
	v_cmp_ne_u16_sdwa vcc, v40, v41 src0_sel:BYTE_0 src1_sel:DWORD
	s_and_saveexec_b64 s[18:19], vcc
	s_cbranch_execz .LBB2_142
; %bb.137:                              ;   in Loop: Header=BB2_114 Depth=3
	v_cmp_ne_u16_sdwa vcc, v40, s61 src0_sel:BYTE_0 src1_sel:DWORD
	v_bfrev_b32_e32 v1, 1
	s_and_saveexec_b64 s[46:47], vcc
	s_cbranch_execz .LBB2_141
; %bb.138:                              ;   in Loop: Header=BB2_114 Depth=3
	v_and_b32_e32 v2, 0x7f, v40
	v_cmp_ne_u32_e32 vcc, s62, v2
	v_mov_b32_e32 v1, 0x7f800001
	s_and_saveexec_b64 s[48:49], vcc
	s_cbranch_execz .LBB2_140
; %bb.139:                              ;   in Loop: Header=BB2_114 Depth=3
	v_and_b32_e32 v1, 7, v40
	v_ffbh_u32_e32 v1, v1
	v_min_u32_e32 v1, 32, v1
	v_subrev_u32_e32 v22, 28, v1
	v_cmp_gt_u32_e32 vcc, 8, v2
	v_lshrrev_b32_e32 v17, 3, v2
	v_cndmask_b32_e32 v2, 0, v22, vcc
	v_sub_u32_e32 v1, 29, v1
	v_lshlrev_b64 v[26:27], v2, v[40:41]
	v_cndmask_b32_e32 v1, v17, v1, vcc
	v_lshlrev_b32_e32 v2, 20, v26
	v_lshlrev_b32_e32 v17, 24, v40
	v_and_b32_e32 v2, 0x700000, v2
	v_and_b32_e32 v17, 0x80000000, v17
	v_lshl_add_u32 v1, v1, 23, v46
	v_or3_b32 v1, v17, v1, v2
.LBB2_140:                              ;   in Loop: Header=BB2_114 Depth=3
	s_or_b64 exec, exec, s[48:49]
.LBB2_141:                              ;   in Loop: Header=BB2_114 Depth=3
	s_or_b64 exec, exec, s[46:47]
.LBB2_142:                              ;   in Loop: Header=BB2_114 Depth=3
	s_or_b64 exec, exec, s[18:19]
	v_mul_f32_e32 v17, v24, v1
	v_and_b32_sdwa v2, v17, s61 dst_sel:DWORD dst_unused:UNUSED_PAD src0_sel:BYTE_3 src1_sel:DWORD
	v_and_b32_e32 v26, 0x7f800000, v17
	v_mov_b32_e32 v27, v41
	v_and_b32_e32 v24, 0x7fffff, v17
	v_mov_b32_e32 v25, v41
	v_or_b32_e32 v1, 0x7e, v2
	v_cmp_ne_u64_e32 vcc, s[36:37], v[26:27]
	s_and_saveexec_b64 s[18:19], vcc
	s_xor_b64 s[46:47], exec, s[18:19]
	s_cbranch_execz .LBB2_152
; %bb.143:                              ;   in Loop: Header=BB2_114 Depth=3
	v_and_b32_e32 v26, 0x7fffffff, v17
	v_mov_b32_e32 v27, v41
	v_cmp_gt_u64_e32 vcc, s[38:39], v[26:27]
	s_and_saveexec_b64 s[48:49], vcc
	s_cbranch_execz .LBB2_151
; %bb.144:                              ;   in Loop: Header=BB2_114 Depth=3
	v_cmp_ne_u32_e32 vcc, 0, v17
	v_mov_b32_e32 v1, 0
	s_and_saveexec_b64 s[50:51], vcc
	s_cbranch_execz .LBB2_150
; %bb.145:                              ;   in Loop: Header=BB2_114 Depth=3
	v_bfe_u32 v1, v17, 23, 8
	v_sub_u32_e32 v22, 0x79, v1
	v_cmp_gt_u32_e32 vcc, s63, v1
	v_add_u32_e32 v17, 0xffffff81, v1
	v_cndmask_b32_e32 v22, 0, v22, vcc
	v_cmp_eq_u32_e32 vcc, 0, v1
	v_cndmask_b32_e32 v1, v17, v47, vcc
	v_cndmask_b32_e32 v17, v22, v30, vcc
	v_add_u32_e32 v22, 20, v17
	v_or_b32_e32 v23, 0x800000, v24
	v_lshlrev_b64 v[26:27], v22, -1
	v_cndmask_b32_e32 v24, v23, v24, vcc
	v_not_b32_e32 v23, v26
	v_not_b32_e32 v22, v27
	v_and_b32_e32 v26, v24, v23
	v_lshrrev_b64 v[24:25], v17, v[24:25]
	v_and_b32_e32 v27, 0, v22
	v_add_u32_e32 v22, 19, v17
	v_lshrrev_b32_e32 v32, 23, v24
	v_lshlrev_b64 v[22:23], v22, 1
	v_add3_u32 v32, v17, v1, v32
	v_bfe_u32 v1, v24, 20, 1
	v_add_u32_e32 v1, -1, v1
	v_cmp_eq_u64_e32 vcc, v[26:27], v[22:23]
	v_cndmask_b32_e32 v1, 0, v1, vcc
	v_add_u32_e32 v1, v1, v24
	v_and_b32_e32 v1, 0xfffff, v1
	v_add_co_u32_e32 v24, vcc, v1, v24
	v_add_u32_e32 v17, 6, v32
	v_addc_co_u32_e32 v25, vcc, 0, v25, vcc
	v_cmp_ne_u32_e32 vcc, 0, v17
                                        ; implicit-def: $vgpr1
	s_and_saveexec_b64 s[18:19], vcc
	s_xor_b64 s[18:19], exec, s[18:19]
; %bb.146:                              ;   in Loop: Header=BB2_114 Depth=3
	v_add_u32_e32 v1, 7, v32
	v_cmp_lt_u64_e32 vcc, s[40:41], v[24:25]
	v_cndmask_b32_e32 v1, v17, v1, vcc
	v_cndmask_b32_e64 v17, 0, 1, vcc
	v_lshrrev_b64 v[24:25], v17, v[24:25]
; %bb.147:                              ;   in Loop: Header=BB2_114 Depth=3
	s_andn2_saveexec_b64 s[18:19], s[18:19]
; %bb.148:                              ;   in Loop: Header=BB2_114 Depth=3
	v_bfe_u32 v1, v24, 23, 1
; %bb.149:                              ;   in Loop: Header=BB2_114 Depth=3
	s_or_b64 exec, exec, s[18:19]
	v_lshrrev_b64 v[22:23], 20, v[24:25]
	v_cmp_gt_i32_e32 vcc, 16, v1
	v_cndmask_b32_e32 v23, 0, v23, vcc
	v_cndmask_b32_e32 v22, 7, v22, vcc
	v_cmp_eq_u32_e32 vcc, 0, v1
	v_min_i32_e32 v1, 15, v1
	v_cmp_eq_u64_e64 s[18:19], 0, v[22:23]
	v_lshlrev_b32_e32 v1, 3, v1
	v_and_or_b32 v1, v22, 7, v1
	s_and_b64 s[18:19], vcc, s[18:19]
	v_cndmask_b32_e64 v1, v1, 0, s[18:19]
	v_or_b32_e32 v1, v1, v2
.LBB2_150:                              ;   in Loop: Header=BB2_114 Depth=3
	s_or_b64 exec, exec, s[50:51]
.LBB2_151:                              ;   in Loop: Header=BB2_114 Depth=3
	s_or_b64 exec, exec, s[48:49]
                                        ; implicit-def: $vgpr17
                                        ; implicit-def: $vgpr24_vgpr25
.LBB2_152:                              ;   in Loop: Header=BB2_114 Depth=3
	s_andn2_saveexec_b64 s[18:19], s[46:47]
; %bb.153:                              ;   in Loop: Header=BB2_114 Depth=3
	v_or_b32_sdwa v2, v17, s62 dst_sel:DWORD dst_unused:UNUSED_PAD src0_sel:BYTE_3 src1_sel:DWORD
	v_cmp_eq_u64_e32 vcc, 0, v[24:25]
	v_cndmask_b32_e32 v1, v2, v1, vcc
; %bb.154:                              ;   in Loop: Header=BB2_114 Depth=3
	s_or_b64 exec, exec, s[18:19]
	v_lshrrev_b16_e32 v2, 8, v16
	v_cmp_ne_u16_e32 vcc, 0, v2
	v_mov_b32_e32 v17, 0
	v_mov_b32_e32 v24, 0
	s_and_saveexec_b64 s[18:19], vcc
	s_cbranch_execz .LBB2_160
; %bb.155:                              ;   in Loop: Header=BB2_114 Depth=3
	v_cmp_ne_u16_e32 vcc, s61, v2
	v_bfrev_b32_e32 v24, 1
	s_and_saveexec_b64 s[46:47], vcc
	s_cbranch_execz .LBB2_159
; %bb.156:                              ;   in Loop: Header=BB2_114 Depth=3
	v_and_b32_e32 v25, 0x7f, v2
	v_cmp_ne_u32_e32 vcc, s62, v25
	v_mov_b32_e32 v24, 0x7f800001
	s_and_saveexec_b64 s[48:49], vcc
	s_cbranch_execz .LBB2_158
; %bb.157:                              ;   in Loop: Header=BB2_114 Depth=3
	v_and_b32_e32 v24, 7, v2
	v_ffbh_u32_e32 v22, v24
	v_min_u32_e32 v27, 32, v22
	v_subrev_u32_e32 v22, 28, v27
	v_lshlrev_b64 v[22:23], v22, v[2:3]
	v_lshrrev_b32_e32 v26, 3, v25
	v_sub_u32_e32 v2, 29, v27
	v_and_b32_e32 v22, 7, v22
	v_cmp_gt_u32_e32 vcc, 8, v25
	v_cndmask_b32_e32 v2, v26, v2, vcc
	v_cndmask_b32_e32 v22, v24, v22, vcc
	v_lshlrev_b32_e32 v23, 16, v16
	v_lshlrev_b32_e32 v22, 20, v22
	v_and_b32_e32 v23, 0x80000000, v23
	v_lshl_add_u32 v2, v2, 23, v46
	v_or3_b32 v24, v23, v2, v22
.LBB2_158:                              ;   in Loop: Header=BB2_114 Depth=3
	s_or_b64 exec, exec, s[48:49]
.LBB2_159:                              ;   in Loop: Header=BB2_114 Depth=3
	s_or_b64 exec, exec, s[46:47]
.LBB2_160:                              ;   in Loop: Header=BB2_114 Depth=3
	s_or_b64 exec, exec, s[18:19]
	v_lshrrev_b16_e32 v2, 8, v40
	v_cmp_ne_u16_e32 vcc, 0, v2
	s_and_saveexec_b64 s[18:19], vcc
	s_cbranch_execz .LBB2_166
; %bb.161:                              ;   in Loop: Header=BB2_114 Depth=3
	v_cmp_ne_u16_e32 vcc, s61, v2
	v_bfrev_b32_e32 v17, 1
	s_and_saveexec_b64 s[46:47], vcc
	s_cbranch_execz .LBB2_165
; %bb.162:                              ;   in Loop: Header=BB2_114 Depth=3
	v_and_b32_e32 v25, 0x7f, v2
	v_cmp_ne_u32_e32 vcc, s62, v25
	v_mov_b32_e32 v17, 0x7f800001
	s_and_saveexec_b64 s[48:49], vcc
	s_cbranch_execz .LBB2_164
; %bb.163:                              ;   in Loop: Header=BB2_114 Depth=3
	v_and_b32_e32 v17, 7, v2
	v_ffbh_u32_e32 v22, v17
	v_min_u32_e32 v27, 32, v22
	v_subrev_u32_e32 v22, 28, v27
	v_lshlrev_b64 v[22:23], v22, v[2:3]
	v_lshrrev_b32_e32 v26, 3, v25
	v_sub_u32_e32 v2, 29, v27
	v_and_b32_e32 v22, 7, v22
	v_cmp_gt_u32_e32 vcc, 8, v25
	v_cndmask_b32_e32 v2, v26, v2, vcc
	v_cndmask_b32_e32 v17, v17, v22, vcc
	v_lshlrev_b32_e32 v22, 16, v40
	v_lshlrev_b32_e32 v17, 20, v17
	v_and_b32_e32 v22, 0x80000000, v22
	v_lshl_add_u32 v2, v2, 23, v46
	v_or3_b32 v17, v22, v2, v17
.LBB2_164:                              ;   in Loop: Header=BB2_114 Depth=3
	s_or_b64 exec, exec, s[48:49]
.LBB2_165:                              ;   in Loop: Header=BB2_114 Depth=3
	s_or_b64 exec, exec, s[46:47]
.LBB2_166:                              ;   in Loop: Header=BB2_114 Depth=3
	s_or_b64 exec, exec, s[18:19]
	v_mul_f32_e32 v17, v24, v17
	v_and_b32_sdwa v2, v17, s61 dst_sel:DWORD dst_unused:UNUSED_PAD src0_sel:BYTE_3 src1_sel:DWORD
	v_and_b32_e32 v22, 0x7f800000, v17
	v_mov_b32_e32 v23, v41
	v_and_b32_e32 v24, 0x7fffff, v17
	v_mov_b32_e32 v25, v41
	v_or_b32_e32 v32, 0x7e, v2
	v_cmp_ne_u64_e32 vcc, s[36:37], v[22:23]
	s_and_saveexec_b64 s[18:19], vcc
	s_xor_b64 s[46:47], exec, s[18:19]
	s_cbranch_execz .LBB2_176
; %bb.167:                              ;   in Loop: Header=BB2_114 Depth=3
	v_and_b32_e32 v22, 0x7fffffff, v17
	v_mov_b32_e32 v23, v41
	v_cmp_gt_u64_e32 vcc, s[38:39], v[22:23]
	s_and_saveexec_b64 s[48:49], vcc
	s_cbranch_execz .LBB2_175
; %bb.168:                              ;   in Loop: Header=BB2_114 Depth=3
	v_cmp_ne_u32_e32 vcc, 0, v17
	v_mov_b32_e32 v32, 0
	s_and_saveexec_b64 s[50:51], vcc
	s_cbranch_execz .LBB2_174
; %bb.169:                              ;   in Loop: Header=BB2_114 Depth=3
	v_bfe_u32 v17, v17, 23, 8
	v_sub_u32_e32 v23, 0x79, v17
	v_cmp_gt_u32_e32 vcc, s63, v17
	v_cndmask_b32_e32 v23, 0, v23, vcc
	v_cmp_eq_u32_e32 vcc, 0, v17
	v_add_u32_e32 v22, 0xffffff81, v17
	v_cndmask_b32_e32 v32, v23, v30, vcc
	v_cndmask_b32_e32 v17, v22, v47, vcc
	v_add_u32_e32 v22, 20, v32
	v_or_b32_e32 v26, 0x800000, v24
	v_lshlrev_b64 v[22:23], v22, -1
	v_cndmask_b32_e32 v24, v26, v24, vcc
	v_not_b32_e32 v22, v22
	v_and_b32_e32 v22, v24, v22
	v_lshrrev_b64 v[24:25], v32, v[24:25]
	v_not_b32_e32 v23, v23
	v_add_u32_e32 v26, 19, v32
	v_lshrrev_b32_e32 v33, 23, v24
	v_and_b32_e32 v23, 0, v23
	v_lshlrev_b64 v[26:27], v26, 1
	v_add3_u32 v33, v32, v17, v33
	v_bfe_u32 v17, v24, 20, 1
	v_add_u32_e32 v17, -1, v17
	v_cmp_eq_u64_e32 vcc, v[22:23], v[26:27]
	v_cndmask_b32_e32 v17, 0, v17, vcc
	v_add_u32_e32 v17, v17, v24
	v_and_b32_e32 v17, 0xfffff, v17
	v_add_co_u32_e32 v24, vcc, v17, v24
	v_add_u32_e32 v32, 6, v33
	v_addc_co_u32_e32 v25, vcc, 0, v25, vcc
	v_cmp_ne_u32_e32 vcc, 0, v32
                                        ; implicit-def: $vgpr17
	s_and_saveexec_b64 s[18:19], vcc
	s_xor_b64 s[18:19], exec, s[18:19]
; %bb.170:                              ;   in Loop: Header=BB2_114 Depth=3
	v_cmp_lt_u64_e32 vcc, s[40:41], v[24:25]
	v_add_u32_e32 v17, 7, v33
	v_cndmask_b32_e64 v22, 0, 1, vcc
	v_cndmask_b32_e32 v17, v32, v17, vcc
	v_lshrrev_b64 v[24:25], v22, v[24:25]
; %bb.171:                              ;   in Loop: Header=BB2_114 Depth=3
	s_andn2_saveexec_b64 s[18:19], s[18:19]
; %bb.172:                              ;   in Loop: Header=BB2_114 Depth=3
	v_bfe_u32 v17, v24, 23, 1
; %bb.173:                              ;   in Loop: Header=BB2_114 Depth=3
	s_or_b64 exec, exec, s[18:19]
	v_lshrrev_b64 v[22:23], 20, v[24:25]
	v_cmp_gt_i32_e32 vcc, 16, v17
	v_cndmask_b32_e32 v23, 0, v23, vcc
	v_cndmask_b32_e32 v22, 7, v22, vcc
	v_cmp_eq_u32_e32 vcc, 0, v17
	v_min_i32_e32 v17, 15, v17
	v_cmp_eq_u64_e64 s[18:19], 0, v[22:23]
	v_lshlrev_b32_e32 v17, 3, v17
	v_and_or_b32 v17, v22, 7, v17
	s_and_b64 s[18:19], vcc, s[18:19]
	v_cndmask_b32_e64 v17, v17, 0, s[18:19]
	v_or_b32_e32 v32, v17, v2
.LBB2_174:                              ;   in Loop: Header=BB2_114 Depth=3
	s_or_b64 exec, exec, s[50:51]
.LBB2_175:                              ;   in Loop: Header=BB2_114 Depth=3
	s_or_b64 exec, exec, s[48:49]
                                        ; implicit-def: $vgpr17
                                        ; implicit-def: $vgpr24_vgpr25
.LBB2_176:                              ;   in Loop: Header=BB2_114 Depth=3
	s_andn2_saveexec_b64 s[18:19], s[46:47]
; %bb.177:                              ;   in Loop: Header=BB2_114 Depth=3
	v_or_b32_sdwa v2, v17, s62 dst_sel:DWORD dst_unused:UNUSED_PAD src0_sel:BYTE_3 src1_sel:DWORD
	v_cmp_eq_u64_e32 vcc, 0, v[24:25]
	v_cndmask_b32_e32 v32, v2, v32, vcc
; %bb.178:                              ;   in Loop: Header=BB2_114 Depth=3
	s_or_b64 exec, exec, s[18:19]
	v_lshrrev_b32_e32 v2, 16, v16
	v_cmp_ne_u16_sdwa vcc, v2, v41 src0_sel:BYTE_0 src1_sel:DWORD
	v_mov_b32_e32 v17, 0
	v_mov_b32_e32 v24, 0
	s_and_saveexec_b64 s[18:19], vcc
	s_cbranch_execz .LBB2_184
; %bb.179:                              ;   in Loop: Header=BB2_114 Depth=3
	v_cmp_ne_u16_sdwa vcc, v2, s61 src0_sel:BYTE_0 src1_sel:DWORD
	v_bfrev_b32_e32 v24, 1
	s_and_saveexec_b64 s[46:47], vcc
	s_cbranch_execz .LBB2_183
; %bb.180:                              ;   in Loop: Header=BB2_114 Depth=3
	v_bfe_u32 v25, v16, 16, 7
	v_cmp_ne_u32_e32 vcc, s62, v25
	v_mov_b32_e32 v24, 0x7f800001
	s_and_saveexec_b64 s[48:49], vcc
	s_cbranch_execz .LBB2_182
; %bb.181:                              ;   in Loop: Header=BB2_114 Depth=3
	v_and_b32_e32 v24, 7, v2
	v_ffbh_u32_e32 v22, v24
	v_min_u32_e32 v27, 32, v22
	v_subrev_u32_e32 v22, 28, v27
	v_lshlrev_b64 v[22:23], v22, v[2:3]
	v_lshrrev_b32_e32 v26, 3, v25
	v_sub_u32_e32 v23, 29, v27
	v_and_b32_e32 v22, 7, v22
	v_cmp_gt_u32_e32 vcc, 8, v25
	v_cndmask_b32_e32 v23, v26, v23, vcc
	v_cndmask_b32_e32 v22, v24, v22, vcc
	v_lshlrev_b32_e32 v2, 24, v2
	v_lshlrev_b32_e32 v22, 20, v22
	v_and_b32_e32 v2, 0x80000000, v2
	v_lshl_add_u32 v23, v23, 23, v46
	v_or3_b32 v24, v2, v23, v22
.LBB2_182:                              ;   in Loop: Header=BB2_114 Depth=3
	s_or_b64 exec, exec, s[48:49]
.LBB2_183:                              ;   in Loop: Header=BB2_114 Depth=3
	s_or_b64 exec, exec, s[46:47]
.LBB2_184:                              ;   in Loop: Header=BB2_114 Depth=3
	s_or_b64 exec, exec, s[18:19]
	v_and_b32_sdwa v25, v40, s60 dst_sel:DWORD dst_unused:UNUSED_PAD src0_sel:WORD_1 src1_sel:DWORD
	v_lshrrev_b32_e32 v2, 16, v40
	v_cmp_ne_u16_e32 vcc, 0, v25
	s_and_saveexec_b64 s[18:19], vcc
	s_cbranch_execz .LBB2_190
; %bb.185:                              ;   in Loop: Header=BB2_114 Depth=3
	v_cmp_ne_u16_e32 vcc, s61, v25
	v_bfrev_b32_e32 v17, 1
	s_and_saveexec_b64 s[46:47], vcc
	s_cbranch_execz .LBB2_189
; %bb.186:                              ;   in Loop: Header=BB2_114 Depth=3
	v_bfe_u32 v25, v40, 16, 7
	v_cmp_ne_u32_e32 vcc, s62, v25
	v_mov_b32_e32 v17, 0x7f800001
	s_and_saveexec_b64 s[48:49], vcc
	s_cbranch_execz .LBB2_188
; %bb.187:                              ;   in Loop: Header=BB2_114 Depth=3
	v_and_b32_e32 v17, 7, v2
	v_ffbh_u32_e32 v22, v17
	v_min_u32_e32 v27, 32, v22
	v_subrev_u32_e32 v22, 28, v27
	v_lshlrev_b64 v[22:23], v22, v[2:3]
	v_lshrrev_b32_e32 v26, 3, v25
	v_sub_u32_e32 v2, 29, v27
	v_and_b32_e32 v22, 7, v22
	v_cmp_gt_u32_e32 vcc, 8, v25
	v_cndmask_b32_e32 v2, v26, v2, vcc
	v_cndmask_b32_e32 v17, v17, v22, vcc
	v_lshlrev_b32_e32 v22, 8, v40
	v_lshlrev_b32_e32 v17, 20, v17
	v_and_b32_e32 v22, 0x80000000, v22
	v_lshl_add_u32 v2, v2, 23, v46
	v_or3_b32 v17, v22, v2, v17
.LBB2_188:                              ;   in Loop: Header=BB2_114 Depth=3
	s_or_b64 exec, exec, s[48:49]
.LBB2_189:                              ;   in Loop: Header=BB2_114 Depth=3
	s_or_b64 exec, exec, s[46:47]
.LBB2_190:                              ;   in Loop: Header=BB2_114 Depth=3
	s_or_b64 exec, exec, s[18:19]
	v_mul_f32_e32 v17, v24, v17
	v_and_b32_sdwa v2, v17, s61 dst_sel:DWORD dst_unused:UNUSED_PAD src0_sel:BYTE_3 src1_sel:DWORD
	v_and_b32_e32 v22, 0x7f800000, v17
	v_mov_b32_e32 v23, v41
	v_and_b32_e32 v24, 0x7fffff, v17
	v_mov_b32_e32 v25, v41
	v_or_b32_e32 v33, 0x7e, v2
	v_cmp_ne_u64_e32 vcc, s[36:37], v[22:23]
	s_and_saveexec_b64 s[18:19], vcc
	s_xor_b64 s[46:47], exec, s[18:19]
	s_cbranch_execz .LBB2_200
; %bb.191:                              ;   in Loop: Header=BB2_114 Depth=3
	v_and_b32_e32 v22, 0x7fffffff, v17
	v_mov_b32_e32 v23, v41
	v_cmp_gt_u64_e32 vcc, s[38:39], v[22:23]
	s_and_saveexec_b64 s[48:49], vcc
	s_cbranch_execz .LBB2_199
; %bb.192:                              ;   in Loop: Header=BB2_114 Depth=3
	v_cmp_ne_u32_e32 vcc, 0, v17
	v_mov_b32_e32 v33, 0
	s_and_saveexec_b64 s[50:51], vcc
	s_cbranch_execz .LBB2_198
; %bb.193:                              ;   in Loop: Header=BB2_114 Depth=3
	v_bfe_u32 v17, v17, 23, 8
	v_sub_u32_e32 v23, 0x79, v17
	v_cmp_gt_u32_e32 vcc, s63, v17
	v_cndmask_b32_e32 v23, 0, v23, vcc
	v_cmp_eq_u32_e32 vcc, 0, v17
	v_add_u32_e32 v22, 0xffffff81, v17
	v_cndmask_b32_e32 v27, v23, v30, vcc
	v_cndmask_b32_e32 v17, v22, v47, vcc
	v_add_u32_e32 v22, 20, v27
	v_or_b32_e32 v26, 0x800000, v24
	v_lshlrev_b64 v[22:23], v22, -1
	v_cndmask_b32_e32 v24, v26, v24, vcc
	v_not_b32_e32 v22, v22
	v_and_b32_e32 v22, v24, v22
	v_add_u32_e32 v26, 19, v27
	v_lshrrev_b64 v[24:25], v27, v[24:25]
	v_not_b32_e32 v23, v23
	v_lshlrev_b64 v[36:37], v26, 1
	v_lshrrev_b32_e32 v26, 23, v24
	v_and_b32_e32 v23, 0, v23
	v_add3_u32 v26, v27, v17, v26
	v_bfe_u32 v17, v24, 20, 1
	v_add_u32_e32 v17, -1, v17
	v_cmp_eq_u64_e32 vcc, v[22:23], v[36:37]
	v_cndmask_b32_e32 v17, 0, v17, vcc
	v_add_u32_e32 v17, v17, v24
	v_and_b32_e32 v17, 0xfffff, v17
	v_add_co_u32_e32 v24, vcc, v17, v24
	v_add_u32_e32 v33, 6, v26
	v_addc_co_u32_e32 v25, vcc, 0, v25, vcc
	v_cmp_ne_u32_e32 vcc, 0, v33
                                        ; implicit-def: $vgpr17
	s_and_saveexec_b64 s[18:19], vcc
	s_xor_b64 s[18:19], exec, s[18:19]
; %bb.194:                              ;   in Loop: Header=BB2_114 Depth=3
	v_cmp_lt_u64_e32 vcc, s[40:41], v[24:25]
	v_add_u32_e32 v17, 7, v26
	v_cndmask_b32_e64 v22, 0, 1, vcc
	v_cndmask_b32_e32 v17, v33, v17, vcc
	v_lshrrev_b64 v[24:25], v22, v[24:25]
; %bb.195:                              ;   in Loop: Header=BB2_114 Depth=3
	s_andn2_saveexec_b64 s[18:19], s[18:19]
; %bb.196:                              ;   in Loop: Header=BB2_114 Depth=3
	v_bfe_u32 v17, v24, 23, 1
; %bb.197:                              ;   in Loop: Header=BB2_114 Depth=3
	s_or_b64 exec, exec, s[18:19]
	v_lshrrev_b64 v[22:23], 20, v[24:25]
	v_cmp_gt_i32_e32 vcc, 16, v17
	v_cndmask_b32_e32 v23, 0, v23, vcc
	v_cndmask_b32_e32 v22, 7, v22, vcc
	v_cmp_eq_u32_e32 vcc, 0, v17
	v_min_i32_e32 v17, 15, v17
	v_cmp_eq_u64_e64 s[18:19], 0, v[22:23]
	v_lshlrev_b32_e32 v17, 3, v17
	v_and_or_b32 v17, v22, 7, v17
	s_and_b64 s[18:19], vcc, s[18:19]
	v_cndmask_b32_e64 v17, v17, 0, s[18:19]
	v_or_b32_e32 v33, v17, v2
.LBB2_198:                              ;   in Loop: Header=BB2_114 Depth=3
	s_or_b64 exec, exec, s[50:51]
.LBB2_199:                              ;   in Loop: Header=BB2_114 Depth=3
	s_or_b64 exec, exec, s[48:49]
                                        ; implicit-def: $vgpr17
                                        ; implicit-def: $vgpr24_vgpr25
.LBB2_200:                              ;   in Loop: Header=BB2_114 Depth=3
	s_andn2_saveexec_b64 s[18:19], s[46:47]
; %bb.201:                              ;   in Loop: Header=BB2_114 Depth=3
	v_or_b32_sdwa v2, v17, s62 dst_sel:DWORD dst_unused:UNUSED_PAD src0_sel:BYTE_3 src1_sel:DWORD
	v_cmp_eq_u64_e32 vcc, 0, v[24:25]
	v_cndmask_b32_e32 v33, v2, v33, vcc
; %bb.202:                              ;   in Loop: Header=BB2_114 Depth=3
	s_or_b64 exec, exec, s[18:19]
	v_cmp_lt_u32_e32 vcc, s64, v16
	v_mov_b32_e32 v17, 0
	v_mov_b32_e32 v24, 0
	s_and_saveexec_b64 s[18:19], vcc
	s_cbranch_execz .LBB2_208
; %bb.203:                              ;   in Loop: Header=BB2_114 Depth=3
	v_lshrrev_b32_e32 v2, 24, v16
	v_cmp_ne_u32_e32 vcc, s61, v2
	v_bfrev_b32_e32 v24, 1
	s_and_saveexec_b64 s[46:47], vcc
	s_cbranch_execz .LBB2_207
; %bb.204:                              ;   in Loop: Header=BB2_114 Depth=3
	v_bfe_u32 v16, v16, 24, 7
	v_cmp_ne_u32_e32 vcc, s62, v16
	v_mov_b32_e32 v24, 0x7f800001
	s_and_saveexec_b64 s[48:49], vcc
	s_cbranch_execz .LBB2_206
; %bb.205:                              ;   in Loop: Header=BB2_114 Depth=3
	v_and_b32_e32 v24, 7, v2
	v_ffbh_u32_e32 v22, v24
	v_min_u32_e32 v26, 32, v22
	v_subrev_u32_e32 v22, 28, v26
	v_lshlrev_b64 v[22:23], v22, v[2:3]
	v_lshrrev_b32_e32 v25, 3, v16
	v_sub_u32_e32 v23, 29, v26
	v_and_b32_e32 v22, 7, v22
	v_cmp_gt_u32_e32 vcc, 8, v16
	v_cndmask_b32_e32 v16, v25, v23, vcc
	v_cndmask_b32_e32 v22, v24, v22, vcc
	v_lshlrev_b32_e32 v2, 24, v2
	v_lshlrev_b32_e32 v22, 20, v22
	v_and_b32_e32 v2, 0x80000000, v2
	v_lshl_add_u32 v16, v16, 23, v46
	v_or3_b32 v24, v2, v16, v22
.LBB2_206:                              ;   in Loop: Header=BB2_114 Depth=3
	s_or_b64 exec, exec, s[48:49]
.LBB2_207:                              ;   in Loop: Header=BB2_114 Depth=3
	s_or_b64 exec, exec, s[46:47]
.LBB2_208:                              ;   in Loop: Header=BB2_114 Depth=3
	s_or_b64 exec, exec, s[18:19]
	v_cmp_lt_u32_e32 vcc, s64, v40
	s_and_saveexec_b64 s[18:19], vcc
	s_cbranch_execz .LBB2_214
; %bb.209:                              ;   in Loop: Header=BB2_114 Depth=3
	v_lshrrev_b32_e32 v2, 24, v40
	v_cmp_ne_u32_sdwa vcc, v40, s61 src0_sel:BYTE_3 src1_sel:DWORD
	v_bfrev_b32_e32 v17, 1
	s_and_saveexec_b64 s[46:47], vcc
	s_cbranch_execz .LBB2_213
; %bb.210:                              ;   in Loop: Header=BB2_114 Depth=3
	v_bfe_u32 v16, v40, 24, 7
	v_cmp_ne_u32_e32 vcc, s62, v16
	v_mov_b32_e32 v17, 0x7f800001
	s_and_saveexec_b64 s[48:49], vcc
	s_cbranch_execz .LBB2_212
; %bb.211:                              ;   in Loop: Header=BB2_114 Depth=3
	v_and_b32_e32 v17, 7, v2
	v_ffbh_u32_e32 v22, v17
	v_min_u32_e32 v26, 32, v22
	v_subrev_u32_e32 v22, 28, v26
	v_lshlrev_b64 v[22:23], v22, v[2:3]
	v_lshrrev_b32_e32 v25, 3, v16
	v_sub_u32_e32 v2, 29, v26
	v_and_b32_e32 v22, 7, v22
	v_cmp_gt_u32_e32 vcc, 8, v16
	v_cndmask_b32_e32 v2, v25, v2, vcc
	v_cndmask_b32_e32 v16, v17, v22, vcc
	v_lshlrev_b32_sdwa v17, v6, v40 dst_sel:DWORD dst_unused:UNUSED_PAD src0_sel:DWORD src1_sel:BYTE_3
	v_lshlrev_b32_e32 v16, 20, v16
	v_and_b32_e32 v17, 0x80000000, v17
	v_lshl_add_u32 v2, v2, 23, v46
	v_or3_b32 v17, v17, v2, v16
.LBB2_212:                              ;   in Loop: Header=BB2_114 Depth=3
	s_or_b64 exec, exec, s[48:49]
.LBB2_213:                              ;   in Loop: Header=BB2_114 Depth=3
	s_or_b64 exec, exec, s[46:47]
.LBB2_214:                              ;   in Loop: Header=BB2_114 Depth=3
	s_or_b64 exec, exec, s[18:19]
	v_mul_f32_e32 v16, v24, v17
	v_and_b32_sdwa v2, v16, s61 dst_sel:DWORD dst_unused:UNUSED_PAD src0_sel:BYTE_3 src1_sel:DWORD
	v_and_b32_e32 v22, 0x7f800000, v16
	v_mov_b32_e32 v23, v41
	v_and_b32_e32 v40, 0x7fffff, v16
	v_or_b32_e32 v24, 0x7e, v2
	v_cmp_ne_u64_e32 vcc, s[36:37], v[22:23]
	s_and_saveexec_b64 s[18:19], vcc
	s_xor_b64 s[46:47], exec, s[18:19]
	s_cbranch_execz .LBB2_224
; %bb.215:                              ;   in Loop: Header=BB2_114 Depth=3
	v_and_b32_e32 v22, 0x7fffffff, v16
	v_mov_b32_e32 v23, v41
	v_cmp_gt_u64_e32 vcc, s[38:39], v[22:23]
	s_and_saveexec_b64 s[48:49], vcc
	s_cbranch_execz .LBB2_223
; %bb.216:                              ;   in Loop: Header=BB2_114 Depth=3
	v_cmp_ne_u32_e32 vcc, 0, v16
	v_mov_b32_e32 v24, 0
	s_and_saveexec_b64 s[50:51], vcc
	s_cbranch_execz .LBB2_222
; %bb.217:                              ;   in Loop: Header=BB2_114 Depth=3
	v_bfe_u32 v16, v16, 23, 8
	v_sub_u32_e32 v22, 0x79, v16
	v_cmp_gt_u32_e32 vcc, s63, v16
	v_cndmask_b32_e32 v22, 0, v22, vcc
	v_cmp_eq_u32_e32 vcc, 0, v16
	v_or_b32_e32 v23, 0x800000, v40
	v_cndmask_b32_e32 v25, v22, v30, vcc
	v_add_u32_e32 v17, 0xffffff81, v16
	v_cndmask_b32_e32 v40, v23, v40, vcc
	v_add_u32_e32 v16, 20, v25
	v_cndmask_b32_e32 v24, v17, v47, vcc
	v_lshlrev_b64 v[16:17], v16, -1
	v_lshrrev_b64 v[36:37], v25, v[40:41]
	v_not_b32_e32 v17, v17
	v_not_b32_e32 v16, v16
	v_add_u32_e32 v22, 19, v25
	v_lshrrev_b32_e32 v26, 23, v36
	v_and_b32_e32 v17, 0, v17
	v_and_b32_e32 v16, v40, v16
	v_lshlrev_b64 v[22:23], v22, 1
	v_add3_u32 v26, v25, v24, v26
	v_bfe_u32 v24, v36, 20, 1
	v_add_u32_e32 v24, -1, v24
	v_cmp_eq_u64_e32 vcc, v[16:17], v[22:23]
	v_cndmask_b32_e32 v16, 0, v24, vcc
	v_add_u32_e32 v16, v16, v36
	v_and_b32_e32 v16, 0xfffff, v16
	v_add_co_u32_e32 v16, vcc, v16, v36
	v_add_u32_e32 v25, 6, v26
	v_addc_co_u32_e32 v17, vcc, 0, v37, vcc
	v_cmp_ne_u32_e32 vcc, 0, v25
                                        ; implicit-def: $vgpr24
	s_and_saveexec_b64 s[18:19], vcc
	s_xor_b64 s[18:19], exec, s[18:19]
; %bb.218:                              ;   in Loop: Header=BB2_114 Depth=3
	v_add_u32_e32 v22, 7, v26
	v_cmp_lt_u64_e32 vcc, s[40:41], v[16:17]
	v_cndmask_b32_e32 v24, v25, v22, vcc
	v_cndmask_b32_e64 v22, 0, 1, vcc
	v_lshrrev_b64 v[16:17], v22, v[16:17]
; %bb.219:                              ;   in Loop: Header=BB2_114 Depth=3
	s_andn2_saveexec_b64 s[18:19], s[18:19]
; %bb.220:                              ;   in Loop: Header=BB2_114 Depth=3
	v_bfe_u32 v24, v16, 23, 1
; %bb.221:                              ;   in Loop: Header=BB2_114 Depth=3
	s_or_b64 exec, exec, s[18:19]
	v_lshrrev_b64 v[16:17], 20, v[16:17]
	v_cmp_gt_i32_e32 vcc, 16, v24
	v_cndmask_b32_e32 v17, 0, v17, vcc
	v_cndmask_b32_e32 v16, 7, v16, vcc
	v_cmp_eq_u64_e64 s[18:19], 0, v[16:17]
	v_min_i32_e32 v17, 15, v24
	v_cmp_eq_u32_e32 vcc, 0, v24
	v_lshlrev_b32_e32 v17, 3, v17
	v_and_or_b32 v16, v16, 7, v17
	s_and_b64 s[18:19], vcc, s[18:19]
	v_cndmask_b32_e64 v16, v16, 0, s[18:19]
	v_or_b32_e32 v24, v16, v2
.LBB2_222:                              ;   in Loop: Header=BB2_114 Depth=3
	s_or_b64 exec, exec, s[50:51]
.LBB2_223:                              ;   in Loop: Header=BB2_114 Depth=3
	s_or_b64 exec, exec, s[48:49]
                                        ; implicit-def: $vgpr16
.LBB2_224:                              ;   in Loop: Header=BB2_114 Depth=3
	s_andn2_saveexec_b64 s[18:19], s[46:47]
; %bb.225:                              ;   in Loop: Header=BB2_114 Depth=3
	v_or_b32_sdwa v2, v16, s62 dst_sel:DWORD dst_unused:UNUSED_PAD src0_sel:BYTE_3 src1_sel:DWORD
	v_cmp_eq_u64_e32 vcc, 0, v[40:41]
	v_cndmask_b32_e32 v24, v2, v24, vcc
; %bb.226:                              ;   in Loop: Header=BB2_114 Depth=3
	s_or_b64 exec, exec, s[18:19]
	v_cmp_ne_u16_sdwa vcc, v18, v41 src0_sel:BYTE_0 src1_sel:DWORD
	v_mov_b32_e32 v2, 0
	v_mov_b32_e32 v16, 0
	s_and_saveexec_b64 s[18:19], vcc
	s_cbranch_execz .LBB2_232
; %bb.227:                              ;   in Loop: Header=BB2_114 Depth=3
	v_cmp_ne_u16_sdwa vcc, v18, s61 src0_sel:BYTE_0 src1_sel:DWORD
	v_bfrev_b32_e32 v16, 1
	s_and_saveexec_b64 s[46:47], vcc
	s_cbranch_execz .LBB2_231
; %bb.228:                              ;   in Loop: Header=BB2_114 Depth=3
	v_and_b32_e32 v17, 0x7f, v18
	v_cmp_ne_u32_e32 vcc, s62, v17
	v_mov_b32_e32 v16, 0x7f800001
	s_and_saveexec_b64 s[48:49], vcc
	s_cbranch_execz .LBB2_230
; %bb.229:                              ;   in Loop: Header=BB2_114 Depth=3
	v_and_b32_e32 v16, 7, v18
	v_ffbh_u32_e32 v16, v16
	v_min_u32_e32 v16, 32, v16
	v_lshrrev_b32_e32 v22, 3, v17
	v_subrev_u32_e32 v23, 28, v16
	v_sub_u32_e32 v16, 29, v16
	v_cmp_gt_u32_e32 vcc, 8, v17
	v_cndmask_b32_e32 v22, v22, v16, vcc
	v_cndmask_b32_e32 v16, 0, v23, vcc
	v_lshlrev_b64 v[16:17], v16, v[18:19]
	v_lshlrev_b32_e32 v16, 20, v16
	v_lshlrev_b32_e32 v17, 24, v18
	v_and_b32_e32 v16, 0x700000, v16
	v_and_b32_e32 v17, 0x80000000, v17
	v_lshl_add_u32 v19, v22, 23, v46
	v_or3_b32 v16, v17, v19, v16
.LBB2_230:                              ;   in Loop: Header=BB2_114 Depth=3
	s_or_b64 exec, exec, s[48:49]
.LBB2_231:                              ;   in Loop: Header=BB2_114 Depth=3
	s_or_b64 exec, exec, s[46:47]
.LBB2_232:                              ;   in Loop: Header=BB2_114 Depth=3
	s_or_b64 exec, exec, s[18:19]
	v_alignbit_b32 v40, v60, v61, v62
	v_cmp_ne_u16_sdwa vcc, v40, v41 src0_sel:BYTE_0 src1_sel:DWORD
	s_and_saveexec_b64 s[18:19], vcc
	s_cbranch_execz .LBB2_238
; %bb.233:                              ;   in Loop: Header=BB2_114 Depth=3
	v_cmp_ne_u16_sdwa vcc, v40, s61 src0_sel:BYTE_0 src1_sel:DWORD
	v_bfrev_b32_e32 v2, 1
	s_and_saveexec_b64 s[46:47], vcc
	s_cbranch_execz .LBB2_237
; %bb.234:                              ;   in Loop: Header=BB2_114 Depth=3
	v_and_b32_e32 v17, 0x7f, v40
	v_cmp_ne_u32_e32 vcc, s62, v17
	v_mov_b32_e32 v2, 0x7f800001
	s_and_saveexec_b64 s[48:49], vcc
	s_cbranch_execz .LBB2_236
; %bb.235:                              ;   in Loop: Header=BB2_114 Depth=3
	v_and_b32_e32 v2, 7, v40
	v_ffbh_u32_e32 v2, v2
	v_min_u32_e32 v2, 32, v2
	v_subrev_u32_e32 v22, 28, v2
	v_cmp_gt_u32_e32 vcc, 8, v17
	v_lshrrev_b32_e32 v19, 3, v17
	v_cndmask_b32_e32 v17, 0, v22, vcc
	v_sub_u32_e32 v2, 29, v2
	v_lshlrev_b64 v[22:23], v17, v[40:41]
	v_cndmask_b32_e32 v2, v19, v2, vcc
	v_lshlrev_b32_e32 v17, 20, v22
	v_lshlrev_b32_e32 v19, 24, v40
	v_and_b32_e32 v17, 0x700000, v17
	v_and_b32_e32 v19, 0x80000000, v19
	v_lshl_add_u32 v2, v2, 23, v46
	v_or3_b32 v2, v19, v2, v17
.LBB2_236:                              ;   in Loop: Header=BB2_114 Depth=3
	s_or_b64 exec, exec, s[48:49]
.LBB2_237:                              ;   in Loop: Header=BB2_114 Depth=3
	s_or_b64 exec, exec, s[46:47]
.LBB2_238:                              ;   in Loop: Header=BB2_114 Depth=3
	s_or_b64 exec, exec, s[18:19]
	v_mul_f32_e32 v25, v16, v2
	v_and_b32_sdwa v2, v25, s61 dst_sel:DWORD dst_unused:UNUSED_PAD src0_sel:BYTE_3 src1_sel:DWORD
	v_and_b32_e32 v22, 0x7f800000, v25
	v_mov_b32_e32 v23, v41
	v_and_b32_e32 v16, 0x7fffff, v25
	v_mov_b32_e32 v17, v41
	v_or_b32_e32 v19, 0x7e, v2
	v_cmp_ne_u64_e32 vcc, s[36:37], v[22:23]
	s_and_saveexec_b64 s[18:19], vcc
	s_xor_b64 s[46:47], exec, s[18:19]
	s_cbranch_execz .LBB2_248
; %bb.239:                              ;   in Loop: Header=BB2_114 Depth=3
	v_and_b32_e32 v22, 0x7fffffff, v25
	v_mov_b32_e32 v23, v41
	v_cmp_gt_u64_e32 vcc, s[38:39], v[22:23]
	s_and_saveexec_b64 s[48:49], vcc
	s_cbranch_execz .LBB2_247
; %bb.240:                              ;   in Loop: Header=BB2_114 Depth=3
	v_cmp_ne_u32_e32 vcc, 0, v25
	v_mov_b32_e32 v19, 0
	s_and_saveexec_b64 s[50:51], vcc
	s_cbranch_execz .LBB2_246
; %bb.241:                              ;   in Loop: Header=BB2_114 Depth=3
	v_bfe_u32 v19, v25, 23, 8
	v_sub_u32_e32 v23, 0x79, v19
	v_cmp_gt_u32_e32 vcc, s63, v19
	v_cndmask_b32_e32 v23, 0, v23, vcc
	v_cmp_eq_u32_e32 vcc, 0, v19
	v_add_u32_e32 v22, 0xffffff81, v19
	v_cndmask_b32_e32 v26, v23, v30, vcc
	v_cndmask_b32_e32 v19, v22, v47, vcc
	v_add_u32_e32 v22, 20, v26
	v_or_b32_e32 v25, 0x800000, v16
	v_lshlrev_b64 v[22:23], v22, -1
	v_cndmask_b32_e32 v16, v25, v16, vcc
	v_not_b32_e32 v22, v22
	v_and_b32_e32 v22, v16, v22
	v_add_u32_e32 v25, 19, v26
	v_lshrrev_b64 v[16:17], v26, v[16:17]
	v_not_b32_e32 v23, v23
	v_lshlrev_b64 v[36:37], v25, 1
	v_lshrrev_b32_e32 v25, 23, v16
	v_and_b32_e32 v23, 0, v23
	v_add3_u32 v26, v26, v19, v25
	v_bfe_u32 v19, v16, 20, 1
	v_add_u32_e32 v19, -1, v19
	v_cmp_eq_u64_e32 vcc, v[22:23], v[36:37]
	v_cndmask_b32_e32 v19, 0, v19, vcc
	v_add_u32_e32 v19, v19, v16
	v_and_b32_e32 v19, 0xfffff, v19
	v_add_co_u32_e32 v16, vcc, v19, v16
	v_add_u32_e32 v25, 6, v26
	v_addc_co_u32_e32 v17, vcc, 0, v17, vcc
	v_cmp_ne_u32_e32 vcc, 0, v25
                                        ; implicit-def: $vgpr19
	s_and_saveexec_b64 s[18:19], vcc
	s_xor_b64 s[18:19], exec, s[18:19]
; %bb.242:                              ;   in Loop: Header=BB2_114 Depth=3
	v_cmp_lt_u64_e32 vcc, s[40:41], v[16:17]
	v_add_u32_e32 v19, 7, v26
	v_cndmask_b32_e64 v22, 0, 1, vcc
	v_cndmask_b32_e32 v19, v25, v19, vcc
	v_lshrrev_b64 v[16:17], v22, v[16:17]
; %bb.243:                              ;   in Loop: Header=BB2_114 Depth=3
	s_andn2_saveexec_b64 s[18:19], s[18:19]
; %bb.244:                              ;   in Loop: Header=BB2_114 Depth=3
	v_bfe_u32 v19, v16, 23, 1
; %bb.245:                              ;   in Loop: Header=BB2_114 Depth=3
	s_or_b64 exec, exec, s[18:19]
	v_lshrrev_b64 v[16:17], 20, v[16:17]
	v_cmp_gt_i32_e32 vcc, 16, v19
	v_cndmask_b32_e32 v17, 0, v17, vcc
	v_cndmask_b32_e32 v16, 7, v16, vcc
	v_cmp_eq_u64_e64 s[18:19], 0, v[16:17]
	v_min_i32_e32 v17, 15, v19
	v_cmp_eq_u32_e32 vcc, 0, v19
	v_lshlrev_b32_e32 v17, 3, v17
	v_and_or_b32 v16, v16, 7, v17
	s_and_b64 s[18:19], vcc, s[18:19]
	v_cndmask_b32_e64 v16, v16, 0, s[18:19]
	v_or_b32_e32 v19, v16, v2
.LBB2_246:                              ;   in Loop: Header=BB2_114 Depth=3
	s_or_b64 exec, exec, s[50:51]
.LBB2_247:                              ;   in Loop: Header=BB2_114 Depth=3
	s_or_b64 exec, exec, s[48:49]
                                        ; implicit-def: $vgpr25
                                        ; implicit-def: $vgpr16_vgpr17
.LBB2_248:                              ;   in Loop: Header=BB2_114 Depth=3
	s_andn2_saveexec_b64 s[18:19], s[46:47]
; %bb.249:                              ;   in Loop: Header=BB2_114 Depth=3
	v_or_b32_sdwa v2, v25, s62 dst_sel:DWORD dst_unused:UNUSED_PAD src0_sel:BYTE_3 src1_sel:DWORD
	v_cmp_eq_u64_e32 vcc, 0, v[16:17]
	v_cndmask_b32_e32 v19, v2, v19, vcc
; %bb.250:                              ;   in Loop: Header=BB2_114 Depth=3
	s_or_b64 exec, exec, s[18:19]
	v_lshrrev_b16_e32 v2, 8, v18
	v_cmp_ne_u16_e32 vcc, 0, v2
	v_mov_b32_e32 v16, 0
	v_mov_b32_e32 v17, 0
	s_and_saveexec_b64 s[18:19], vcc
	s_cbranch_execz .LBB2_256
; %bb.251:                              ;   in Loop: Header=BB2_114 Depth=3
	v_cmp_ne_u16_e32 vcc, s61, v2
	v_bfrev_b32_e32 v17, 1
	s_and_saveexec_b64 s[46:47], vcc
	s_cbranch_execz .LBB2_255
; %bb.252:                              ;   in Loop: Header=BB2_114 Depth=3
	v_and_b32_e32 v25, 0x7f, v2
	v_cmp_ne_u32_e32 vcc, s62, v25
	v_mov_b32_e32 v17, 0x7f800001
	s_and_saveexec_b64 s[48:49], vcc
	s_cbranch_execz .LBB2_254
; %bb.253:                              ;   in Loop: Header=BB2_114 Depth=3
	v_and_b32_e32 v17, 7, v2
	v_ffbh_u32_e32 v22, v17
	v_min_u32_e32 v27, 32, v22
	v_subrev_u32_e32 v22, 28, v27
	v_lshlrev_b64 v[22:23], v22, v[2:3]
	v_lshrrev_b32_e32 v26, 3, v25
	v_sub_u32_e32 v2, 29, v27
	v_and_b32_e32 v22, 7, v22
	v_cmp_gt_u32_e32 vcc, 8, v25
	v_cndmask_b32_e32 v2, v26, v2, vcc
	v_cndmask_b32_e32 v17, v17, v22, vcc
	v_lshlrev_b32_e32 v22, 16, v18
	v_lshlrev_b32_e32 v17, 20, v17
	v_and_b32_e32 v22, 0x80000000, v22
	v_lshl_add_u32 v2, v2, 23, v46
	v_or3_b32 v17, v22, v2, v17
.LBB2_254:                              ;   in Loop: Header=BB2_114 Depth=3
	s_or_b64 exec, exec, s[48:49]
.LBB2_255:                              ;   in Loop: Header=BB2_114 Depth=3
	s_or_b64 exec, exec, s[46:47]
.LBB2_256:                              ;   in Loop: Header=BB2_114 Depth=3
	s_or_b64 exec, exec, s[18:19]
	v_lshrrev_b16_e32 v2, 8, v40
	v_cmp_ne_u16_e32 vcc, 0, v2
	s_and_saveexec_b64 s[18:19], vcc
	s_cbranch_execz .LBB2_262
; %bb.257:                              ;   in Loop: Header=BB2_114 Depth=3
	v_cmp_ne_u16_e32 vcc, s61, v2
	v_bfrev_b32_e32 v16, 1
	s_and_saveexec_b64 s[46:47], vcc
	s_cbranch_execz .LBB2_261
; %bb.258:                              ;   in Loop: Header=BB2_114 Depth=3
	v_and_b32_e32 v25, 0x7f, v2
	v_cmp_ne_u32_e32 vcc, s62, v25
	v_mov_b32_e32 v16, 0x7f800001
	s_and_saveexec_b64 s[48:49], vcc
	s_cbranch_execz .LBB2_260
; %bb.259:                              ;   in Loop: Header=BB2_114 Depth=3
	v_and_b32_e32 v16, 7, v2
	v_ffbh_u32_e32 v22, v16
	v_min_u32_e32 v27, 32, v22
	v_subrev_u32_e32 v22, 28, v27
	v_lshlrev_b64 v[22:23], v22, v[2:3]
	v_lshrrev_b32_e32 v26, 3, v25
	v_sub_u32_e32 v2, 29, v27
	v_and_b32_e32 v22, 7, v22
	v_cmp_gt_u32_e32 vcc, 8, v25
	v_cndmask_b32_e32 v2, v26, v2, vcc
	v_cndmask_b32_e32 v16, v16, v22, vcc
	v_lshlrev_b32_e32 v22, 16, v40
	v_lshlrev_b32_e32 v16, 20, v16
	v_and_b32_e32 v22, 0x80000000, v22
	v_lshl_add_u32 v2, v2, 23, v46
	v_or3_b32 v16, v22, v2, v16
.LBB2_260:                              ;   in Loop: Header=BB2_114 Depth=3
	s_or_b64 exec, exec, s[48:49]
.LBB2_261:                              ;   in Loop: Header=BB2_114 Depth=3
	s_or_b64 exec, exec, s[46:47]
.LBB2_262:                              ;   in Loop: Header=BB2_114 Depth=3
	s_or_b64 exec, exec, s[18:19]
	v_mul_f32_e32 v60, v17, v16
	v_and_b32_sdwa v2, v60, s61 dst_sel:DWORD dst_unused:UNUSED_PAD src0_sel:BYTE_3 src1_sel:DWORD
	v_and_b32_e32 v22, 0x7f800000, v60
	v_mov_b32_e32 v23, v41
	v_and_b32_e32 v16, 0x7fffff, v60
	v_mov_b32_e32 v17, v41
	v_or_b32_e32 v25, 0x7e, v2
	v_cmp_ne_u64_e32 vcc, s[36:37], v[22:23]
	s_and_saveexec_b64 s[18:19], vcc
	s_xor_b64 s[46:47], exec, s[18:19]
	s_cbranch_execz .LBB2_272
; %bb.263:                              ;   in Loop: Header=BB2_114 Depth=3
	v_and_b32_e32 v22, 0x7fffffff, v60
	v_mov_b32_e32 v23, v41
	v_cmp_gt_u64_e32 vcc, s[38:39], v[22:23]
	s_and_saveexec_b64 s[48:49], vcc
	s_cbranch_execz .LBB2_271
; %bb.264:                              ;   in Loop: Header=BB2_114 Depth=3
	v_cmp_ne_u32_e32 vcc, 0, v60
	v_mov_b32_e32 v25, 0
	s_and_saveexec_b64 s[50:51], vcc
	s_cbranch_execz .LBB2_270
; %bb.265:                              ;   in Loop: Header=BB2_114 Depth=3
	v_bfe_u32 v22, v60, 23, 8
	v_sub_u32_e32 v25, 0x79, v22
	v_cmp_gt_u32_e32 vcc, s63, v22
	v_cndmask_b32_e32 v25, 0, v25, vcc
	v_cmp_eq_u32_e32 vcc, 0, v22
	v_cndmask_b32_e32 v25, v25, v30, vcc
	v_add_u32_e32 v23, 0xffffff81, v22
	v_add_u32_e32 v22, 20, v25
	v_or_b32_e32 v26, 0x800000, v16
	v_cndmask_b32_e32 v27, v23, v47, vcc
	v_lshlrev_b64 v[22:23], v22, -1
	v_cndmask_b32_e32 v16, v26, v16, vcc
	v_not_b32_e32 v22, v22
	v_and_b32_e32 v22, v16, v22
	v_add_u32_e32 v26, 19, v25
	v_lshrrev_b64 v[16:17], v25, v[16:17]
	v_not_b32_e32 v23, v23
	v_lshlrev_b64 v[36:37], v26, 1
	v_lshrrev_b32_e32 v26, 23, v16
	v_and_b32_e32 v23, 0, v23
	v_add3_u32 v26, v25, v27, v26
	v_bfe_u32 v25, v16, 20, 1
	v_add_u32_e32 v25, -1, v25
	v_cmp_eq_u64_e32 vcc, v[22:23], v[36:37]
	v_cndmask_b32_e32 v22, 0, v25, vcc
	v_add_u32_e32 v22, v22, v16
	v_and_b32_e32 v22, 0xfffff, v22
	v_add_co_u32_e32 v16, vcc, v22, v16
	v_add_u32_e32 v60, 6, v26
	v_addc_co_u32_e32 v17, vcc, 0, v17, vcc
	v_cmp_ne_u32_e32 vcc, 0, v60
                                        ; implicit-def: $vgpr25
	s_and_saveexec_b64 s[18:19], vcc
	s_xor_b64 s[18:19], exec, s[18:19]
; %bb.266:                              ;   in Loop: Header=BB2_114 Depth=3
	v_add_u32_e32 v22, 7, v26
	v_cmp_lt_u64_e32 vcc, s[40:41], v[16:17]
	v_cndmask_b32_e32 v25, v60, v22, vcc
	v_cndmask_b32_e64 v22, 0, 1, vcc
	v_lshrrev_b64 v[16:17], v22, v[16:17]
; %bb.267:                              ;   in Loop: Header=BB2_114 Depth=3
	s_andn2_saveexec_b64 s[18:19], s[18:19]
; %bb.268:                              ;   in Loop: Header=BB2_114 Depth=3
	v_bfe_u32 v25, v16, 23, 1
; %bb.269:                              ;   in Loop: Header=BB2_114 Depth=3
	s_or_b64 exec, exec, s[18:19]
	v_lshrrev_b64 v[16:17], 20, v[16:17]
	v_cmp_gt_i32_e32 vcc, 16, v25
	v_cndmask_b32_e32 v17, 0, v17, vcc
	v_cndmask_b32_e32 v16, 7, v16, vcc
	v_cmp_eq_u64_e64 s[18:19], 0, v[16:17]
	v_min_i32_e32 v17, 15, v25
	v_cmp_eq_u32_e32 vcc, 0, v25
	v_lshlrev_b32_e32 v17, 3, v17
	v_and_or_b32 v16, v16, 7, v17
	s_and_b64 s[18:19], vcc, s[18:19]
	v_cndmask_b32_e64 v16, v16, 0, s[18:19]
	v_or_b32_e32 v25, v16, v2
.LBB2_270:                              ;   in Loop: Header=BB2_114 Depth=3
	s_or_b64 exec, exec, s[50:51]
.LBB2_271:                              ;   in Loop: Header=BB2_114 Depth=3
	s_or_b64 exec, exec, s[48:49]
                                        ; implicit-def: $vgpr60
                                        ; implicit-def: $vgpr16_vgpr17
.LBB2_272:                              ;   in Loop: Header=BB2_114 Depth=3
	s_andn2_saveexec_b64 s[18:19], s[46:47]
; %bb.273:                              ;   in Loop: Header=BB2_114 Depth=3
	v_or_b32_sdwa v2, v60, s62 dst_sel:DWORD dst_unused:UNUSED_PAD src0_sel:BYTE_3 src1_sel:DWORD
	v_cmp_eq_u64_e32 vcc, 0, v[16:17]
	v_cndmask_b32_e32 v25, v2, v25, vcc
; %bb.274:                              ;   in Loop: Header=BB2_114 Depth=3
	s_or_b64 exec, exec, s[18:19]
	v_lshrrev_b32_e32 v2, 16, v18
	v_cmp_ne_u16_sdwa vcc, v2, v41 src0_sel:BYTE_0 src1_sel:DWORD
	v_mov_b32_e32 v16, 0
	v_mov_b32_e32 v17, 0
	s_and_saveexec_b64 s[18:19], vcc
	s_cbranch_execz .LBB2_280
; %bb.275:                              ;   in Loop: Header=BB2_114 Depth=3
	v_cmp_ne_u16_sdwa vcc, v2, s61 src0_sel:BYTE_0 src1_sel:DWORD
	v_bfrev_b32_e32 v17, 1
	s_and_saveexec_b64 s[46:47], vcc
	s_cbranch_execz .LBB2_279
; %bb.276:                              ;   in Loop: Header=BB2_114 Depth=3
	v_bfe_u32 v26, v18, 16, 7
	v_cmp_ne_u32_e32 vcc, s62, v26
	v_mov_b32_e32 v17, 0x7f800001
	s_and_saveexec_b64 s[48:49], vcc
	s_cbranch_execz .LBB2_278
; %bb.277:                              ;   in Loop: Header=BB2_114 Depth=3
	v_and_b32_e32 v17, 7, v2
	v_ffbh_u32_e32 v22, v17
	v_min_u32_e32 v36, 32, v22
	v_subrev_u32_e32 v22, 28, v36
	v_lshlrev_b64 v[22:23], v22, v[2:3]
	v_lshrrev_b32_e32 v27, 3, v26
	v_sub_u32_e32 v23, 29, v36
	v_and_b32_e32 v22, 7, v22
	v_cmp_gt_u32_e32 vcc, 8, v26
	v_cndmask_b32_e32 v23, v27, v23, vcc
	v_cndmask_b32_e32 v17, v17, v22, vcc
	v_lshlrev_b32_e32 v2, 24, v2
	v_lshlrev_b32_e32 v17, 20, v17
	v_and_b32_e32 v2, 0x80000000, v2
	v_lshl_add_u32 v22, v23, 23, v46
	v_or3_b32 v17, v2, v22, v17
.LBB2_278:                              ;   in Loop: Header=BB2_114 Depth=3
	s_or_b64 exec, exec, s[48:49]
.LBB2_279:                              ;   in Loop: Header=BB2_114 Depth=3
	s_or_b64 exec, exec, s[46:47]
.LBB2_280:                              ;   in Loop: Header=BB2_114 Depth=3
	s_or_b64 exec, exec, s[18:19]
	v_and_b32_sdwa v26, v40, s60 dst_sel:DWORD dst_unused:UNUSED_PAD src0_sel:WORD_1 src1_sel:DWORD
	v_lshrrev_b32_e32 v2, 16, v40
	v_cmp_ne_u16_e32 vcc, 0, v26
	s_and_saveexec_b64 s[18:19], vcc
	s_cbranch_execz .LBB2_286
; %bb.281:                              ;   in Loop: Header=BB2_114 Depth=3
	v_cmp_ne_u16_e32 vcc, s61, v26
	v_bfrev_b32_e32 v16, 1
	s_and_saveexec_b64 s[46:47], vcc
	s_cbranch_execz .LBB2_285
; %bb.282:                              ;   in Loop: Header=BB2_114 Depth=3
	v_bfe_u32 v26, v40, 16, 7
	v_cmp_ne_u32_e32 vcc, s62, v26
	v_mov_b32_e32 v16, 0x7f800001
	s_and_saveexec_b64 s[48:49], vcc
	s_cbranch_execz .LBB2_284
; %bb.283:                              ;   in Loop: Header=BB2_114 Depth=3
	v_and_b32_e32 v16, 7, v2
	v_ffbh_u32_e32 v22, v16
	v_min_u32_e32 v36, 32, v22
	v_subrev_u32_e32 v22, 28, v36
	v_lshlrev_b64 v[22:23], v22, v[2:3]
	v_lshrrev_b32_e32 v27, 3, v26
	v_sub_u32_e32 v2, 29, v36
	v_and_b32_e32 v22, 7, v22
	v_cmp_gt_u32_e32 vcc, 8, v26
	v_cndmask_b32_e32 v2, v27, v2, vcc
	v_cndmask_b32_e32 v16, v16, v22, vcc
	v_lshlrev_b32_e32 v22, 8, v40
	v_lshlrev_b32_e32 v16, 20, v16
	v_and_b32_e32 v22, 0x80000000, v22
	v_lshl_add_u32 v2, v2, 23, v46
	v_or3_b32 v16, v22, v2, v16
.LBB2_284:                              ;   in Loop: Header=BB2_114 Depth=3
	s_or_b64 exec, exec, s[48:49]
.LBB2_285:                              ;   in Loop: Header=BB2_114 Depth=3
	s_or_b64 exec, exec, s[46:47]
.LBB2_286:                              ;   in Loop: Header=BB2_114 Depth=3
	s_or_b64 exec, exec, s[18:19]
	v_mul_f32_e32 v61, v17, v16
	v_and_b32_sdwa v2, v61, s61 dst_sel:DWORD dst_unused:UNUSED_PAD src0_sel:BYTE_3 src1_sel:DWORD
	v_and_b32_e32 v22, 0x7f800000, v61
	v_mov_b32_e32 v23, v41
	v_and_b32_e32 v16, 0x7fffff, v61
	v_mov_b32_e32 v17, v41
	v_or_b32_e32 v60, 0x7e, v2
	v_cmp_ne_u64_e32 vcc, s[36:37], v[22:23]
	s_and_saveexec_b64 s[18:19], vcc
	s_xor_b64 s[46:47], exec, s[18:19]
	s_cbranch_execz .LBB2_296
; %bb.287:                              ;   in Loop: Header=BB2_114 Depth=3
	v_and_b32_e32 v22, 0x7fffffff, v61
	v_mov_b32_e32 v23, v41
	v_cmp_gt_u64_e32 vcc, s[38:39], v[22:23]
	s_and_saveexec_b64 s[48:49], vcc
	s_cbranch_execz .LBB2_295
; %bb.288:                              ;   in Loop: Header=BB2_114 Depth=3
	v_cmp_ne_u32_e32 vcc, 0, v61
	v_mov_b32_e32 v60, 0
	s_and_saveexec_b64 s[50:51], vcc
	s_cbranch_execz .LBB2_294
; %bb.289:                              ;   in Loop: Header=BB2_114 Depth=3
	v_bfe_u32 v22, v61, 23, 8
	v_sub_u32_e32 v26, 0x79, v22
	v_cmp_gt_u32_e32 vcc, s63, v22
	v_cndmask_b32_e32 v26, 0, v26, vcc
	v_cmp_eq_u32_e32 vcc, 0, v22
	v_cndmask_b32_e32 v26, v26, v30, vcc
	v_add_u32_e32 v23, 0xffffff81, v22
	v_add_u32_e32 v22, 20, v26
	v_or_b32_e32 v27, 0x800000, v16
	v_cndmask_b32_e32 v60, v23, v47, vcc
	v_lshlrev_b64 v[22:23], v22, -1
	v_cndmask_b32_e32 v16, v27, v16, vcc
	v_not_b32_e32 v22, v22
	v_and_b32_e32 v22, v16, v22
	v_add_u32_e32 v27, 19, v26
	v_lshrrev_b64 v[16:17], v26, v[16:17]
	v_not_b32_e32 v23, v23
	v_lshlrev_b64 v[36:37], v27, 1
	v_lshrrev_b32_e32 v27, 23, v16
	v_and_b32_e32 v23, 0, v23
	v_add3_u32 v26, v26, v60, v27
	v_bfe_u32 v27, v16, 20, 1
	v_add_u32_e32 v27, -1, v27
	v_cmp_eq_u64_e32 vcc, v[22:23], v[36:37]
	v_cndmask_b32_e32 v22, 0, v27, vcc
	v_add_u32_e32 v22, v22, v16
	v_and_b32_e32 v22, 0xfffff, v22
	v_add_co_u32_e32 v16, vcc, v22, v16
	v_add_u32_e32 v61, 6, v26
	v_addc_co_u32_e32 v17, vcc, 0, v17, vcc
	v_cmp_ne_u32_e32 vcc, 0, v61
                                        ; implicit-def: $vgpr60
	s_and_saveexec_b64 s[18:19], vcc
	s_xor_b64 s[18:19], exec, s[18:19]
; %bb.290:                              ;   in Loop: Header=BB2_114 Depth=3
	v_add_u32_e32 v22, 7, v26
	v_cmp_lt_u64_e32 vcc, s[40:41], v[16:17]
	v_cndmask_b32_e32 v60, v61, v22, vcc
	v_cndmask_b32_e64 v22, 0, 1, vcc
	v_lshrrev_b64 v[16:17], v22, v[16:17]
; %bb.291:                              ;   in Loop: Header=BB2_114 Depth=3
	s_andn2_saveexec_b64 s[18:19], s[18:19]
; %bb.292:                              ;   in Loop: Header=BB2_114 Depth=3
	v_bfe_u32 v60, v16, 23, 1
; %bb.293:                              ;   in Loop: Header=BB2_114 Depth=3
	s_or_b64 exec, exec, s[18:19]
	v_lshrrev_b64 v[16:17], 20, v[16:17]
	v_cmp_gt_i32_e32 vcc, 16, v60
	v_cndmask_b32_e32 v17, 0, v17, vcc
	v_cndmask_b32_e32 v16, 7, v16, vcc
	v_cmp_eq_u64_e64 s[18:19], 0, v[16:17]
	v_min_i32_e32 v17, 15, v60
	v_lshlrev_b32_e32 v17, 3, v17
	v_cmp_eq_u32_e32 vcc, 0, v60
	v_and_b32_e32 v17, 0xf8, v17
	v_and_or_b32 v16, v16, 7, v17
	s_and_b64 s[18:19], vcc, s[18:19]
	v_cndmask_b32_e64 v16, v16, 0, s[18:19]
	v_or_b32_e32 v60, v16, v2
.LBB2_294:                              ;   in Loop: Header=BB2_114 Depth=3
	s_or_b64 exec, exec, s[50:51]
.LBB2_295:                              ;   in Loop: Header=BB2_114 Depth=3
	s_or_b64 exec, exec, s[48:49]
                                        ; implicit-def: $vgpr61
                                        ; implicit-def: $vgpr16_vgpr17
.LBB2_296:                              ;   in Loop: Header=BB2_114 Depth=3
	s_andn2_saveexec_b64 s[18:19], s[46:47]
; %bb.297:                              ;   in Loop: Header=BB2_114 Depth=3
	v_or_b32_sdwa v2, v61, s62 dst_sel:DWORD dst_unused:UNUSED_PAD src0_sel:BYTE_3 src1_sel:DWORD
	v_cmp_eq_u64_e32 vcc, 0, v[16:17]
	v_cndmask_b32_e32 v60, v2, v60, vcc
; %bb.298:                              ;   in Loop: Header=BB2_114 Depth=3
	s_or_b64 exec, exec, s[18:19]
	v_and_b32_e32 v16, 0xff000000, v18
	v_mov_b32_e32 v17, v41
	v_cmp_ne_u64_e32 vcc, 0, v[16:17]
	v_mov_b32_e32 v16, 0
	v_mov_b32_e32 v17, 0
	s_and_saveexec_b64 s[18:19], vcc
	s_cbranch_execz .LBB2_304
; %bb.299:                              ;   in Loop: Header=BB2_114 Depth=3
	v_lshrrev_b32_e32 v2, 24, v18
	v_cmp_ne_u32_e32 vcc, s61, v2
	v_bfrev_b32_e32 v17, 1
	s_and_saveexec_b64 s[46:47], vcc
	s_cbranch_execz .LBB2_303
; %bb.300:                              ;   in Loop: Header=BB2_114 Depth=3
	v_bfe_u32 v18, v18, 24, 7
	v_cmp_ne_u32_e32 vcc, s62, v18
	v_mov_b32_e32 v17, 0x7f800001
	s_and_saveexec_b64 s[48:49], vcc
	s_cbranch_execz .LBB2_302
; %bb.301:                              ;   in Loop: Header=BB2_114 Depth=3
	v_and_b32_e32 v17, 7, v2
	v_ffbh_u32_e32 v22, v17
	v_min_u32_e32 v27, 32, v22
	v_subrev_u32_e32 v22, 28, v27
	v_lshlrev_b64 v[22:23], v22, v[2:3]
	v_lshrrev_b32_e32 v26, 3, v18
	v_sub_u32_e32 v23, 29, v27
	v_and_b32_e32 v22, 7, v22
	v_cmp_gt_u32_e32 vcc, 8, v18
	v_cndmask_b32_e32 v18, v26, v23, vcc
	v_cndmask_b32_e32 v17, v17, v22, vcc
	v_lshlrev_b32_e32 v2, 24, v2
	v_lshlrev_b32_e32 v17, 20, v17
	v_and_b32_e32 v2, 0x80000000, v2
	v_lshl_add_u32 v18, v18, 23, v46
	v_or3_b32 v17, v2, v18, v17
.LBB2_302:                              ;   in Loop: Header=BB2_114 Depth=3
	s_or_b64 exec, exec, s[48:49]
.LBB2_303:                              ;   in Loop: Header=BB2_114 Depth=3
	s_or_b64 exec, exec, s[46:47]
.LBB2_304:                              ;   in Loop: Header=BB2_114 Depth=3
	s_or_b64 exec, exec, s[18:19]
	v_cmp_lt_u32_e32 vcc, s64, v40
	s_and_saveexec_b64 s[18:19], vcc
	s_cbranch_execz .LBB2_310
; %bb.305:                              ;   in Loop: Header=BB2_114 Depth=3
	v_lshrrev_b32_e32 v2, 24, v40
	v_cmp_ne_u32_sdwa vcc, v40, s61 src0_sel:BYTE_3 src1_sel:DWORD
	v_bfrev_b32_e32 v16, 1
	s_and_saveexec_b64 s[46:47], vcc
	s_cbranch_execz .LBB2_309
; %bb.306:                              ;   in Loop: Header=BB2_114 Depth=3
	v_bfe_u32 v18, v40, 24, 7
	v_cmp_ne_u32_e32 vcc, s62, v18
	v_mov_b32_e32 v16, 0x7f800001
	s_and_saveexec_b64 s[48:49], vcc
	s_cbranch_execz .LBB2_308
; %bb.307:                              ;   in Loop: Header=BB2_114 Depth=3
	v_and_b32_e32 v16, 7, v2
	v_ffbh_u32_e32 v22, v16
	v_min_u32_e32 v27, 32, v22
	v_subrev_u32_e32 v22, 28, v27
	v_lshlrev_b64 v[22:23], v22, v[2:3]
	v_lshrrev_b32_e32 v26, 3, v18
	v_sub_u32_e32 v2, 29, v27
	v_and_b32_e32 v22, 7, v22
	v_cmp_gt_u32_e32 vcc, 8, v18
	v_cndmask_b32_e32 v2, v26, v2, vcc
	v_cndmask_b32_e32 v16, v16, v22, vcc
	v_lshlrev_b32_sdwa v18, v6, v40 dst_sel:DWORD dst_unused:UNUSED_PAD src0_sel:DWORD src1_sel:BYTE_3
	v_lshlrev_b32_e32 v16, 20, v16
	v_and_b32_e32 v18, 0x80000000, v18
	v_lshl_add_u32 v2, v2, 23, v46
	v_or3_b32 v16, v18, v2, v16
.LBB2_308:                              ;   in Loop: Header=BB2_114 Depth=3
	s_or_b64 exec, exec, s[48:49]
.LBB2_309:                              ;   in Loop: Header=BB2_114 Depth=3
	s_or_b64 exec, exec, s[46:47]
.LBB2_310:                              ;   in Loop: Header=BB2_114 Depth=3
	s_or_b64 exec, exec, s[18:19]
	v_mul_f32_e32 v17, v17, v16
	v_and_b32_sdwa v2, v17, s61 dst_sel:DWORD dst_unused:UNUSED_PAD src0_sel:BYTE_3 src1_sel:DWORD
	v_and_b32_e32 v22, 0x7f800000, v17
	v_mov_b32_e32 v23, v41
	v_and_b32_e32 v40, 0x7fffff, v17
	v_or_b32_e32 v16, 0x7e, v2
	v_cmp_ne_u64_e32 vcc, s[36:37], v[22:23]
	s_and_saveexec_b64 s[18:19], vcc
	s_xor_b64 s[46:47], exec, s[18:19]
	s_cbranch_execz .LBB2_320
; %bb.311:                              ;   in Loop: Header=BB2_114 Depth=3
	v_and_b32_e32 v22, 0x7fffffff, v17
	v_mov_b32_e32 v23, v41
	v_cmp_gt_u64_e32 vcc, s[38:39], v[22:23]
	s_and_saveexec_b64 s[48:49], vcc
	s_cbranch_execz .LBB2_319
; %bb.312:                              ;   in Loop: Header=BB2_114 Depth=3
	v_cmp_ne_u32_e32 vcc, 0, v17
	v_mov_b32_e32 v16, 0
	s_and_saveexec_b64 s[50:51], vcc
	s_cbranch_execz .LBB2_318
; %bb.313:                              ;   in Loop: Header=BB2_114 Depth=3
	v_bfe_u32 v16, v17, 23, 8
	v_sub_u32_e32 v18, 0x79, v16
	v_cmp_gt_u32_e32 vcc, s63, v16
	v_cndmask_b32_e32 v18, 0, v18, vcc
	v_cmp_eq_u32_e32 vcc, 0, v16
	v_or_b32_e32 v22, 0x800000, v40
	v_cndmask_b32_e32 v18, v18, v30, vcc
	v_add_u32_e32 v17, 0xffffff81, v16
	v_cndmask_b32_e32 v40, v22, v40, vcc
	v_add_u32_e32 v16, 20, v18
	v_cndmask_b32_e32 v26, v17, v47, vcc
	v_lshlrev_b64 v[16:17], v16, -1
	v_lshrrev_b64 v[36:37], v18, v[40:41]
	v_not_b32_e32 v17, v17
	v_not_b32_e32 v16, v16
	v_add_u32_e32 v22, 19, v18
	v_lshrrev_b32_e32 v27, 23, v36
	v_and_b32_e32 v17, 0, v17
	v_and_b32_e32 v16, v40, v16
	v_lshlrev_b64 v[22:23], v22, 1
	v_add3_u32 v26, v18, v26, v27
	v_bfe_u32 v18, v36, 20, 1
	v_add_u32_e32 v18, -1, v18
	v_cmp_eq_u64_e32 vcc, v[16:17], v[22:23]
	v_cndmask_b32_e32 v16, 0, v18, vcc
	v_add_u32_e32 v16, v16, v36
	v_and_b32_e32 v16, 0xfffff, v16
	v_add_co_u32_e32 v16, vcc, v16, v36
	v_add_u32_e32 v40, 6, v26
	v_addc_co_u32_e32 v17, vcc, 0, v37, vcc
	v_cmp_ne_u32_e32 vcc, 0, v40
                                        ; implicit-def: $vgpr18
	s_and_saveexec_b64 s[18:19], vcc
	s_xor_b64 s[18:19], exec, s[18:19]
; %bb.314:                              ;   in Loop: Header=BB2_114 Depth=3
	v_cmp_lt_u64_e32 vcc, s[40:41], v[16:17]
	v_add_u32_e32 v18, 7, v26
	v_cndmask_b32_e64 v22, 0, 1, vcc
	v_cndmask_b32_e32 v18, v40, v18, vcc
	v_lshrrev_b64 v[16:17], v22, v[16:17]
; %bb.315:                              ;   in Loop: Header=BB2_114 Depth=3
	s_andn2_saveexec_b64 s[18:19], s[18:19]
; %bb.316:                              ;   in Loop: Header=BB2_114 Depth=3
	v_bfe_u32 v18, v16, 23, 1
; %bb.317:                              ;   in Loop: Header=BB2_114 Depth=3
	s_or_b64 exec, exec, s[18:19]
	v_lshrrev_b64 v[16:17], 20, v[16:17]
	v_cmp_gt_i32_e32 vcc, 16, v18
	v_cndmask_b32_e32 v17, 0, v17, vcc
	v_cndmask_b32_e32 v16, 7, v16, vcc
	v_cmp_eq_u64_e64 s[18:19], 0, v[16:17]
	v_min_i32_e32 v17, 15, v18
	v_lshlrev_b32_e32 v17, 3, v17
	v_cmp_eq_u32_e32 vcc, 0, v18
	v_and_b32_e32 v17, 0xf8, v17
	v_and_or_b32 v16, v16, 7, v17
	s_and_b64 s[18:19], vcc, s[18:19]
	v_cndmask_b32_e64 v16, v16, 0, s[18:19]
	v_or_b32_e32 v16, v16, v2
.LBB2_318:                              ;   in Loop: Header=BB2_114 Depth=3
	s_or_b64 exec, exec, s[50:51]
.LBB2_319:                              ;   in Loop: Header=BB2_114 Depth=3
	s_or_b64 exec, exec, s[48:49]
                                        ; implicit-def: $vgpr17
.LBB2_320:                              ;   in Loop: Header=BB2_114 Depth=3
	s_andn2_saveexec_b64 s[18:19], s[46:47]
	s_cbranch_execz .LBB2_113
; %bb.321:                              ;   in Loop: Header=BB2_114 Depth=3
	v_or_b32_sdwa v2, v17, s62 dst_sel:DWORD dst_unused:UNUSED_PAD src0_sel:BYTE_3 src1_sel:DWORD
	v_cmp_eq_u64_e32 vcc, 0, v[40:41]
	v_cndmask_b32_e32 v16, v2, v16, vcc
	s_branch .LBB2_113
.LBB2_322:                              ;   in Loop: Header=BB2_70 Depth=2
	s_or_b64 exec, exec, s[44:45]
	s_or_b64 exec, exec, s[42:43]
	s_and_saveexec_b64 s[18:19], s[10:11]
	s_cbranch_execz .LBB2_74
.LBB2_323:                              ;   in Loop: Header=BB2_70 Depth=2
	s_and_saveexec_b64 vcc, s[28:29]
	s_xor_b64 s[42:43], exec, vcc
	s_cbranch_execz .LBB2_338
; %bb.324:                              ;   in Loop: Header=BB2_70 Depth=2
	s_and_saveexec_b64 s[44:45], s[12:13]
	s_cbranch_execz .LBB2_337
; %bb.325:                              ;   in Loop: Header=BB2_70 Depth=2
	s_mov_b64 s[48:49], exec
	v_mbcnt_lo_u32_b32 v1, s48, 0
	v_mbcnt_hi_u32_b32 v1, s49, v1
	v_cmp_eq_u32_e32 vcc, 0, v1
	s_waitcnt vmcnt(0) lgkmcnt(0)
	buffer_wbinvl1_vol
	s_and_saveexec_b64 s[46:47], vcc
	s_cbranch_execz .LBB2_327
; %bb.326:                              ;   in Loop: Header=BB2_70 Depth=2
	s_bcnt1_i32_b64 vcc_lo, s[48:49]
	v_mov_b32_e32 v40, vcc_lo
	ds_add_u64 v0, v[40:41]
	s_trap 2
.LBB2_327:                              ;   in Loop: Header=BB2_70 Depth=2
	s_or_b64 exec, exec, s[46:47]
	s_trap 2
	ds_read_b64 v[2:3], v0
	v_accvgpr_read_b32 v4, a26
	v_add_co_u32_e32 v42, vcc, v42, v4
	v_accvgpr_read_b32 v1, a27
	v_addc_co_u32_e32 v43, vcc, v43, v1, vcc
	s_waitcnt lgkmcnt(0)
	v_cmp_lt_u64_e32 vcc, v[2:3], v[42:43]
	s_and_saveexec_b64 s[46:47], vcc
	s_cbranch_execz .LBB2_336
; %bb.328:                              ;   in Loop: Header=BB2_70 Depth=2
	s_mov_b32 s70, 0
	s_mov_b64 s[48:49], 0
                                        ; implicit-def: $sgpr50_sgpr51
                                        ; implicit-def: $sgpr52_sgpr53
	s_branch .LBB2_330
.LBB2_329:                              ;   in Loop: Header=BB2_330 Depth=3
	s_or_b64 exec, exec, s[56:57]
	s_and_b64 vcc, exec, vcc
	s_or_b64 s[48:49], vcc, s[48:49]
	s_andn2_b64 vcc, s[50:51], exec
	s_and_b64 s[50:51], s[52:53], exec
	s_or_b64 s[50:51], vcc, s[50:51]
	s_andn2_b64 exec, exec, s[48:49]
	s_cbranch_execz .LBB2_334
.LBB2_330:                              ;   Parent Loop BB2_21 Depth=1
                                        ;     Parent Loop BB2_70 Depth=2
                                        ; =>    This Inner Loop Header: Depth=3
	s_add_i32 s70, s70, 1
	s_cmpk_lg_i32 s70, 0x2710
	s_cselect_b64 s[54:55], -1, 0
	s_and_b64 vcc, exec, s[54:55]
                                        ; implicit-def: $sgpr56_sgpr57
	s_cbranch_vccnz .LBB2_332
; %bb.331:                              ;   in Loop: Header=BB2_330 Depth=3
	s_trap 2
	ds_read_b64 v[2:3], v0
	s_andn2_b64 s[54:55], s[54:55], exec
	s_mov_b32 s70, 0
	s_mov_b64 s[56:57], -1
	s_waitcnt lgkmcnt(0)
	flat_load_dword v1, v[2:3] glc
	s_waitcnt vmcnt(0) lgkmcnt(0)
	buffer_invl2
	buffer_wbinvl1_vol
	v_cmp_eq_u32_e32 vcc, 0, v1
	s_and_b64 vcc, vcc, exec
	s_or_b64 s[54:55], s[54:55], vcc
.LBB2_332:                              ;   in Loop: Header=BB2_330 Depth=3
	s_andn2_b64 s[52:53], s[52:53], exec
	s_and_b64 s[56:57], s[56:57], exec
	s_mov_b64 vcc, -1
	s_or_b64 s[52:53], s[52:53], s[56:57]
	s_and_saveexec_b64 s[56:57], s[54:55]
	s_cbranch_execz .LBB2_329
; %bb.333:                              ;   in Loop: Header=BB2_330 Depth=3
	s_sleep 1
	s_trap 2
	ds_read_b64 v[2:3], v0
	s_andn2_b64 s[52:53], s[52:53], exec
	s_waitcnt lgkmcnt(0)
	v_cmp_ge_u64_e32 vcc, v[2:3], v[42:43]
	s_orn2_b64 vcc, vcc, exec
	s_branch .LBB2_329
.LBB2_334:                              ;   in Loop: Header=BB2_70 Depth=2
	s_or_b64 exec, exec, s[48:49]
	s_and_saveexec_b64 vcc, s[50:51]
	s_xor_b64 vcc, exec, vcc
	s_cbranch_execz .LBB2_336
; %bb.335:                              ;   in Loop: Header=BB2_70 Depth=2
	v_mov_b32_e32 v1, 1
	ds_write_b32 v0, v1
	s_trap 2
.LBB2_336:                              ;   in Loop: Header=BB2_70 Depth=2
	s_or_b64 exec, exec, s[46:47]
	;;#ASMSTART
	s_wakeup
	;;#ASMEND
.LBB2_337:                              ;   in Loop: Header=BB2_70 Depth=2
	s_or_b64 exec, exec, s[44:45]
.LBB2_338:                              ;   in Loop: Header=BB2_70 Depth=2
	s_andn2_saveexec_b64 vcc, s[42:43]
	s_cbranch_execz .LBB2_340
; %bb.339:                              ;   in Loop: Header=BB2_70 Depth=2
	s_waitcnt vmcnt(0) lgkmcnt(0)
	buffer_wbinvl1_vol
	s_barrier
.LBB2_340:                              ;   in Loop: Header=BB2_70 Depth=2
	s_or_b64 exec, exec, vcc
	s_or_b64 exec, exec, s[18:19]
	s_and_saveexec_b64 s[18:19], s[14:15]
	s_cbranch_execnz .LBB2_75
	s_branch .LBB2_76
.LBB2_341:                              ;   in Loop: Header=BB2_21 Depth=1
	v_accvgpr_write_b32 a43, v1
	v_accvgpr_write_b32 a42, v2
	v_pk_mov_b32 v[16:17], v[28:29], v[28:29] op_sel:[0,1]
	s_branch .LBB2_343
.LBB2_342:                              ;   in Loop: Header=BB2_21 Depth=1
	v_accvgpr_read_b32 v37, a9
	v_accvgpr_read_b32 v55, a41
	v_pk_mov_b32 v[16:17], v[28:29], v[28:29] op_sel:[0,1]
	v_accvgpr_read_b32 v36, a8
	v_accvgpr_read_b32 v54, a40
.LBB2_343:                              ;   in Loop: Header=BB2_21 Depth=1
	v_accvgpr_read_b32 v29, a36
	v_accvgpr_read_b32 v4, a42
	;; [unrolled: 1-line block ×3, first 2 shown]
; %bb.344:                              ;   in Loop: Header=BB2_21 Depth=1
	s_and_saveexec_b64 s[18:19], s[16:17]
	s_cbranch_execz .LBB2_574
; %bb.345:                              ;   in Loop: Header=BB2_21 Depth=1
	v_accvgpr_read_b32 v0, a4
	v_accvgpr_read_b32 v1, a5
	flat_load_dword v8, v[0:1]
	s_waitcnt vmcnt(0) lgkmcnt(0)
	v_accvgpr_read_b32 v2, a10
	v_accvgpr_read_b32 v3, a11
	v_add_co_u32_e32 v2, vcc, v2, v4
	v_addc_co_u32_e32 v3, vcc, v3, v5, vcc
	v_accvgpr_read_b32 v0, a32
	v_add_co_u32_e32 v0, vcc, v0, v4
	v_and_b32_e32 v4, 7, v34
	v_accvgpr_read_b32 v1, a33
	v_mul_lo_u32 v4, v4, s58
	v_addc_co_u32_e32 v1, vcc, v1, v5, vcc
	v_ashrrev_i32_e32 v5, 31, v4
	v_lshlrev_b64 v[4:5], 4, v[4:5]
	v_accvgpr_read_b32 v10, a16
	v_accvgpr_read_b32 v11, a17
	v_add_co_u32_e32 v25, vcc, v10, v4
	v_addc_co_u32_e32 v28, vcc, v11, v5, vcc
	v_accvgpr_read_b32 v5, a23
	v_accvgpr_read_b32 v9, a22
	v_add_u32_e32 v24, 1, v34
	s_mov_b64 s[42:43], 0
	v_mov_b32_e32 v26, v44
	v_ashrrev_i32_e32 v4, 31, v8
	v_mul_lo_u32 v5, v5, v8
	v_mad_u64_u32 v[2:3], s[16:17], v9, v8, v[2:3]
	v_mul_lo_u32 v4, v9, v4
	v_add3_u32 v3, v5, v3, v4
	v_accvgpr_read_b32 v4, a28
	v_add_co_u32_e32 v18, vcc, v2, v4
	v_accvgpr_read_b32 v5, a29
	v_addc_co_u32_e32 v19, vcc, v3, v5, vcc
	s_branch .LBB2_347
.LBB2_346:                              ;   in Loop: Header=BB2_347 Depth=2
	v_add_co_u32_e32 v18, vcc, v18, v56
	v_addc_co_u32_e32 v19, vcc, v19, v45, vcc
	v_add_co_u32_e32 v0, vcc, v0, v56
	v_addc_co_u32_e32 v1, vcc, v1, v45, vcc
	v_sub_u32_e32 v21, v21, v56
	v_cmp_gt_i32_e32 vcc, 1, v21
	s_or_b64 s[42:43], vcc, s[42:43]
	v_add_u32_e32 v26, v26, v20
	s_andn2_b64 exec, exec, s[42:43]
	s_cbranch_execz .LBB2_573
.LBB2_347:                              ;   Parent Loop BB2_21 Depth=1
                                        ; =>  This Loop Header: Depth=2
                                        ;       Child Loop BB2_355 Depth 3
	v_and_b32_e32 v2, -4, v18
	v_mov_b32_e32 v3, v19
	global_load_dword v8, v[2:3], off glc slc
	v_min_u32_e32 v4, 8, v21
	v_and_b32_e32 v5, 3, v18
	v_add_co_u32_e32 v4, vcc, v5, v4
	v_addc_co_u32_e64 v5, s[16:17], 0, 0, vcc
	v_mov_b32_e32 v29, 0
	v_cmp_lt_u64_e32 vcc, 4, v[4:5]
	v_mov_b32_e32 v31, 0
	s_and_saveexec_b64 s[16:17], vcc
	s_cbranch_execz .LBB2_349
; %bb.348:                              ;   in Loop: Header=BB2_347 Depth=2
	global_load_dword v31, v[2:3], off offset:4 glc slc
.LBB2_349:                              ;   in Loop: Header=BB2_347 Depth=2
	s_or_b64 exec, exec, s[16:17]
	v_cmp_lt_u64_e32 vcc, 8, v[4:5]
	s_and_saveexec_b64 s[16:17], vcc
	s_cbranch_execz .LBB2_351
; %bb.350:                              ;   in Loop: Header=BB2_347 Depth=2
	global_load_dword v29, v[2:3], off offset:8 glc slc
.LBB2_351:                              ;   in Loop: Header=BB2_347 Depth=2
	s_or_b64 exec, exec, s[16:17]
	v_ashrrev_i32_e32 v27, 31, v26
	v_lshlrev_b64 v[2:3], 4, v[26:27]
	v_add_co_u32_e32 v10, vcc, v25, v2
	v_addc_co_u32_e32 v11, vcc, v28, v3, vcc
	global_load_dwordx4 v[2:5], v[10:11], off glc slc
	v_cmp_eq_u32_e32 vcc, 0, v7
	s_and_saveexec_b64 s[44:45], vcc
	s_cbranch_execz .LBB2_363
; %bb.352:                              ;   in Loop: Header=BB2_347 Depth=2
	s_waitcnt vmcnt(0)
	v_cmp_ne_u32_e32 vcc, v24, v3
	v_cmp_ne_u32_e64 s[16:17], v24, v5
	s_or_b64 s[16:17], vcc, s[16:17]
	v_mov_b32_e32 v7, 0
	s_and_saveexec_b64 s[46:47], s[16:17]
	s_cbranch_execz .LBB2_362
; %bb.353:                              ;   in Loop: Header=BB2_347 Depth=2
	s_mov_b32 s52, 1
	s_mov_b64 s[48:49], 0
	v_mov_b32_e32 v7, 0
	s_branch .LBB2_355
.LBB2_354:                              ;   in Loop: Header=BB2_355 Depth=3
	s_or_b64 exec, exec, s[50:51]
	s_and_b64 s[16:17], exec, s[16:17]
	s_or_b64 s[48:49], s[16:17], s[48:49]
	s_andn2_b64 exec, exec, s[48:49]
	s_cbranch_execz .LBB2_361
.LBB2_355:                              ;   Parent Loop BB2_21 Depth=1
                                        ;     Parent Loop BB2_347 Depth=2
                                        ; =>    This Inner Loop Header: Depth=3
	global_load_dwordx4 v[2:5], v[10:11], off glc slc
	s_add_i32 s52, s52, 1
	s_cmpk_lg_i32 s52, 0x2710
	s_cbranch_scc1 .LBB2_359
; %bb.356:                              ;   in Loop: Header=BB2_355 Depth=3
	s_trap 2
	ds_read_b64 v[32:33], v0
	s_waitcnt vmcnt(0) lgkmcnt(0)
	flat_load_dword v9, v[32:33] glc
	s_waitcnt vmcnt(0) lgkmcnt(0)
	buffer_invl2
	buffer_wbinvl1_vol
	v_cmp_ne_u32_e32 vcc, 0, v9
	s_and_saveexec_b64 s[16:17], vcc
	s_cbranch_execz .LBB2_358
; %bb.357:                              ;   in Loop: Header=BB2_355 Depth=3
	v_mov_b32_e32 v7, 1
	ds_write_b32 v0, v9
	s_trap 2
.LBB2_358:                              ;   in Loop: Header=BB2_355 Depth=3
	s_or_b64 exec, exec, s[16:17]
	s_mov_b32 s52, 0
	v_mov_b32_e32 v9, v7
	v_cmp_eq_u32_e32 vcc, 0, v9
	s_mov_b64 s[16:17], -1
	s_and_saveexec_b64 s[50:51], vcc
	s_cbranch_execz .LBB2_354
	s_branch .LBB2_360
.LBB2_359:                              ;   in Loop: Header=BB2_355 Depth=3
	v_mov_b32_e32 v9, 0
	v_cmp_eq_u32_e32 vcc, 0, v9
	s_mov_b64 s[16:17], -1
	s_and_saveexec_b64 s[50:51], vcc
	s_cbranch_execz .LBB2_354
.LBB2_360:                              ;   in Loop: Header=BB2_355 Depth=3
	s_waitcnt vmcnt(0)
	v_cmp_eq_u32_e32 vcc, v24, v3
	v_cmp_eq_u32_e64 s[16:17], v24, v5
	s_and_b64 s[16:17], vcc, s[16:17]
	s_orn2_b64 s[16:17], s[16:17], exec
	s_branch .LBB2_354
.LBB2_361:                              ;   in Loop: Header=BB2_347 Depth=2
	s_or_b64 exec, exec, s[48:49]
.LBB2_362:                              ;   in Loop: Header=BB2_347 Depth=2
	s_or_b64 exec, exec, s[46:47]
.LBB2_363:                              ;   in Loop: Header=BB2_347 Depth=2
	s_or_b64 exec, exec, s[44:45]
	s_waitcnt vmcnt(0)
	v_cmp_ne_u16_sdwa vcc, v2, v41 src0_sel:BYTE_0 src1_sel:DWORD
	v_mov_b32_e32 v9, 0
	v_mov_b32_e32 v10, 0
	s_and_saveexec_b64 s[16:17], vcc
	s_cbranch_execz .LBB2_369
; %bb.364:                              ;   in Loop: Header=BB2_347 Depth=2
	v_cmp_ne_u16_sdwa vcc, v2, s61 src0_sel:BYTE_0 src1_sel:DWORD
	v_bfrev_b32_e32 v10, 1
	s_and_saveexec_b64 s[44:45], vcc
	s_cbranch_execz .LBB2_368
; %bb.365:                              ;   in Loop: Header=BB2_347 Depth=2
	v_and_b32_e32 v11, 0x7f, v2
	v_cmp_ne_u32_e32 vcc, s62, v11
	v_mov_b32_e32 v10, 0x7f800001
	s_and_saveexec_b64 s[46:47], vcc
	s_cbranch_execz .LBB2_367
; %bb.366:                              ;   in Loop: Header=BB2_347 Depth=2
	v_and_b32_e32 v10, 7, v2
	v_ffbh_u32_e32 v10, v10
	v_min_u32_e32 v10, 32, v10
	v_lshrrev_b32_e32 v22, 3, v11
	v_subrev_u32_e32 v23, 28, v10
	v_sub_u32_e32 v10, 29, v10
	v_cmp_gt_u32_e32 vcc, 8, v11
	v_cndmask_b32_e32 v22, v22, v10, vcc
	v_cndmask_b32_e32 v10, 0, v23, vcc
	v_lshlrev_b64 v[10:11], v10, v[2:3]
	v_lshlrev_b32_e32 v3, 20, v10
	v_lshlrev_b32_e32 v10, 24, v2
	v_and_b32_e32 v3, 0x700000, v3
	v_and_b32_e32 v10, 0x80000000, v10
	v_lshl_add_u32 v11, v22, 23, v46
	v_or3_b32 v10, v10, v11, v3
.LBB2_367:                              ;   in Loop: Header=BB2_347 Depth=2
	s_or_b64 exec, exec, s[46:47]
.LBB2_368:                              ;   in Loop: Header=BB2_347 Depth=2
	s_or_b64 exec, exec, s[44:45]
.LBB2_369:                              ;   in Loop: Header=BB2_347 Depth=2
	s_or_b64 exec, exec, s[16:17]
	v_lshlrev_b32_e32 v32, 3, v18
	v_alignbit_b32 v40, v31, v8, v32
	v_cmp_ne_u16_sdwa vcc, v40, v41 src0_sel:BYTE_0 src1_sel:DWORD
	s_and_saveexec_b64 s[16:17], vcc
	s_cbranch_execz .LBB2_375
; %bb.370:                              ;   in Loop: Header=BB2_347 Depth=2
	v_cmp_ne_u16_sdwa vcc, v40, s61 src0_sel:BYTE_0 src1_sel:DWORD
	v_bfrev_b32_e32 v9, 1
	s_and_saveexec_b64 s[44:45], vcc
	s_cbranch_execz .LBB2_374
; %bb.371:                              ;   in Loop: Header=BB2_347 Depth=2
	v_and_b32_e32 v3, 0x7f, v40
	v_cmp_ne_u32_e32 vcc, s62, v3
	v_mov_b32_e32 v9, 0x7f800001
	s_and_saveexec_b64 s[46:47], vcc
	s_cbranch_execz .LBB2_373
; %bb.372:                              ;   in Loop: Header=BB2_347 Depth=2
	v_and_b32_e32 v8, 7, v40
	v_ffbh_u32_e32 v8, v8
	v_min_u32_e32 v8, 32, v8
	v_lshrrev_b32_e32 v9, 3, v3
	v_subrev_u32_e32 v11, 28, v8
	v_sub_u32_e32 v8, 29, v8
	v_cmp_gt_u32_e32 vcc, 8, v3
	v_cndmask_b32_e32 v3, v9, v8, vcc
	v_cndmask_b32_e32 v8, 0, v11, vcc
	v_lshlrev_b64 v[8:9], v8, v[40:41]
	v_lshlrev_b32_e32 v8, 20, v8
	v_lshlrev_b32_e32 v9, 24, v40
	v_and_b32_e32 v8, 0x700000, v8
	v_and_b32_e32 v9, 0x80000000, v9
	v_lshl_add_u32 v3, v3, 23, v46
	v_or3_b32 v9, v9, v3, v8
.LBB2_373:                              ;   in Loop: Header=BB2_347 Depth=2
	s_or_b64 exec, exec, s[46:47]
.LBB2_374:                              ;   in Loop: Header=BB2_347 Depth=2
	s_or_b64 exec, exec, s[44:45]
.LBB2_375:                              ;   in Loop: Header=BB2_347 Depth=2
	s_or_b64 exec, exec, s[16:17]
	v_mul_f32_e32 v9, v10, v9
	v_and_b32_sdwa v3, v9, s61 dst_sel:DWORD dst_unused:UNUSED_PAD src0_sel:BYTE_3 src1_sel:DWORD
	v_and_b32_e32 v48, 0x7f800000, v9
	v_mov_b32_e32 v49, v41
	v_and_b32_e32 v10, 0x7fffff, v9
	v_mov_b32_e32 v11, v41
	v_or_b32_e32 v8, 0x7e, v3
	v_cmp_ne_u64_e32 vcc, s[36:37], v[48:49]
	s_and_saveexec_b64 s[16:17], vcc
	s_xor_b64 s[44:45], exec, s[16:17]
	s_cbranch_execz .LBB2_385
; %bb.376:                              ;   in Loop: Header=BB2_347 Depth=2
	v_and_b32_e32 v48, 0x7fffffff, v9
	v_mov_b32_e32 v49, v41
	v_cmp_gt_u64_e32 vcc, s[38:39], v[48:49]
	s_and_saveexec_b64 s[46:47], vcc
	s_cbranch_execz .LBB2_384
; %bb.377:                              ;   in Loop: Header=BB2_347 Depth=2
	v_cmp_ne_u32_e32 vcc, 0, v9
	v_mov_b32_e32 v8, 0
	s_and_saveexec_b64 s[48:49], vcc
	s_cbranch_execz .LBB2_383
; %bb.378:                              ;   in Loop: Header=BB2_347 Depth=2
	v_bfe_u32 v8, v9, 23, 8
	v_cmp_eq_u32_e32 vcc, 0, v8
	v_add_u32_e32 v9, 0xffffff81, v8
	v_cmp_gt_u32_e64 s[16:17], s63, v8
	v_sub_u32_e32 v8, 0x79, v8
	v_cndmask_b32_e64 v8, 0, v8, s[16:17]
	v_cndmask_b32_e32 v27, v8, v30, vcc
	v_add_u32_e32 v8, 20, v27
	v_or_b32_e32 v22, 0x800000, v10
	v_cndmask_b32_e32 v23, v9, v47, vcc
	v_lshlrev_b64 v[8:9], v8, -1
	v_cndmask_b32_e32 v10, v22, v10, vcc
	v_not_b32_e32 v9, v9
	v_not_b32_e32 v8, v8
	v_add_u32_e32 v22, 19, v27
	v_and_b32_e32 v9, 0, v9
	v_and_b32_e32 v8, v10, v8
	v_lshlrev_b64 v[48:49], v22, 1
	v_lshrrev_b64 v[10:11], v27, v[10:11]
	v_cmp_eq_u64_e32 vcc, v[8:9], v[48:49]
	v_lshrrev_b32_e32 v8, 23, v10
	v_add3_u32 v27, v27, v23, v8
	v_bfe_u32 v8, v10, 20, 1
	v_add_u32_e32 v8, -1, v8
	v_cndmask_b32_e32 v8, 0, v8, vcc
	v_add_u32_e32 v8, v8, v10
	v_and_b32_e32 v8, 0xfffff, v8
	v_add_co_u32_e32 v10, vcc, v8, v10
	v_add_u32_e32 v9, 6, v27
	v_addc_co_u32_e32 v11, vcc, 0, v11, vcc
	v_cmp_ne_u32_e32 vcc, 0, v9
                                        ; implicit-def: $vgpr8
	s_and_saveexec_b64 s[16:17], vcc
	s_xor_b64 s[16:17], exec, s[16:17]
; %bb.379:                              ;   in Loop: Header=BB2_347 Depth=2
	v_add_u32_e32 v8, 7, v27
	v_cmp_lt_u64_e32 vcc, s[40:41], v[10:11]
	v_cndmask_b32_e32 v8, v9, v8, vcc
	v_cndmask_b32_e64 v9, 0, 1, vcc
	v_lshrrev_b64 v[10:11], v9, v[10:11]
; %bb.380:                              ;   in Loop: Header=BB2_347 Depth=2
	s_andn2_saveexec_b64 s[16:17], s[16:17]
; %bb.381:                              ;   in Loop: Header=BB2_347 Depth=2
	v_bfe_u32 v8, v10, 23, 1
; %bb.382:                              ;   in Loop: Header=BB2_347 Depth=2
	s_or_b64 exec, exec, s[16:17]
	v_lshrrev_b64 v[10:11], 20, v[10:11]
	v_cmp_gt_i32_e32 vcc, 16, v8
	v_cndmask_b32_e32 v11, 0, v11, vcc
	v_cndmask_b32_e32 v10, 7, v10, vcc
	v_cmp_eq_u32_e32 vcc, 0, v8
	v_min_i32_e32 v8, 15, v8
	v_cmp_eq_u64_e64 s[16:17], 0, v[10:11]
	v_lshlrev_b32_e32 v8, 3, v8
	v_and_or_b32 v8, v10, 7, v8
	s_and_b64 s[16:17], vcc, s[16:17]
	v_cndmask_b32_e64 v8, v8, 0, s[16:17]
	v_or_b32_e32 v8, v8, v3
.LBB2_383:                              ;   in Loop: Header=BB2_347 Depth=2
	s_or_b64 exec, exec, s[48:49]
.LBB2_384:                              ;   in Loop: Header=BB2_347 Depth=2
	s_or_b64 exec, exec, s[46:47]
                                        ; implicit-def: $vgpr9
                                        ; implicit-def: $vgpr10_vgpr11
.LBB2_385:                              ;   in Loop: Header=BB2_347 Depth=2
	s_andn2_saveexec_b64 s[16:17], s[44:45]
; %bb.386:                              ;   in Loop: Header=BB2_347 Depth=2
	v_or_b32_sdwa v3, v9, s62 dst_sel:DWORD dst_unused:UNUSED_PAD src0_sel:BYTE_3 src1_sel:DWORD
	v_cmp_eq_u64_e32 vcc, 0, v[10:11]
	v_cndmask_b32_e32 v8, v3, v8, vcc
; %bb.387:                              ;   in Loop: Header=BB2_347 Depth=2
	s_or_b64 exec, exec, s[16:17]
	v_lshrrev_b16_e32 v10, 8, v2
	v_cmp_ne_u16_e32 vcc, 0, v10
	v_mov_b32_e32 v3, 0
	v_mov_b32_e32 v9, 0
	s_and_saveexec_b64 s[16:17], vcc
	s_cbranch_execz .LBB2_393
; %bb.388:                              ;   in Loop: Header=BB2_347 Depth=2
	v_cmp_ne_u16_e32 vcc, s61, v10
	v_bfrev_b32_e32 v9, 1
	s_and_saveexec_b64 s[44:45], vcc
	s_cbranch_execz .LBB2_392
; %bb.389:                              ;   in Loop: Header=BB2_347 Depth=2
	v_and_b32_e32 v11, 0x7f, v10
	v_cmp_ne_u32_e32 vcc, s62, v11
	v_mov_b32_e32 v9, 0x7f800001
	s_and_saveexec_b64 s[46:47], vcc
	s_cbranch_execz .LBB2_391
; %bb.390:                              ;   in Loop: Header=BB2_347 Depth=2
	v_and_b32_e32 v9, 7, v10
	v_ffbh_u32_e32 v23, v9
	v_min_u32_e32 v23, 32, v23
	v_subrev_u32_e32 v27, 28, v23
	v_lshlrev_b64 v[48:49], v27, v[10:11]
	v_lshrrev_b32_e32 v22, 3, v11
	v_sub_u32_e32 v10, 29, v23
	v_and_b32_e32 v23, 7, v48
	v_cmp_gt_u32_e32 vcc, 8, v11
	v_cndmask_b32_e32 v10, v22, v10, vcc
	v_cndmask_b32_e32 v9, v9, v23, vcc
	v_lshlrev_b32_e32 v11, 16, v2
	v_lshlrev_b32_e32 v9, 20, v9
	v_and_b32_e32 v11, 0x80000000, v11
	v_lshl_add_u32 v10, v10, 23, v46
	v_or3_b32 v9, v11, v10, v9
.LBB2_391:                              ;   in Loop: Header=BB2_347 Depth=2
	s_or_b64 exec, exec, s[46:47]
.LBB2_392:                              ;   in Loop: Header=BB2_347 Depth=2
	s_or_b64 exec, exec, s[44:45]
.LBB2_393:                              ;   in Loop: Header=BB2_347 Depth=2
	s_or_b64 exec, exec, s[16:17]
	v_lshrrev_b16_e32 v10, 8, v40
	v_cmp_ne_u16_e32 vcc, 0, v10
	s_and_saveexec_b64 s[16:17], vcc
	s_cbranch_execz .LBB2_399
; %bb.394:                              ;   in Loop: Header=BB2_347 Depth=2
	v_cmp_ne_u16_e32 vcc, s61, v10
	v_bfrev_b32_e32 v3, 1
	s_and_saveexec_b64 s[44:45], vcc
	s_cbranch_execz .LBB2_398
; %bb.395:                              ;   in Loop: Header=BB2_347 Depth=2
	v_and_b32_e32 v11, 0x7f, v10
	v_cmp_ne_u32_e32 vcc, s62, v11
	v_mov_b32_e32 v3, 0x7f800001
	s_and_saveexec_b64 s[46:47], vcc
	s_cbranch_execz .LBB2_397
; %bb.396:                              ;   in Loop: Header=BB2_347 Depth=2
	v_and_b32_e32 v3, 7, v10
	v_ffbh_u32_e32 v23, v3
	v_min_u32_e32 v23, 32, v23
	v_subrev_u32_e32 v27, 28, v23
	v_lshlrev_b64 v[48:49], v27, v[10:11]
	v_lshrrev_b32_e32 v22, 3, v11
	v_sub_u32_e32 v10, 29, v23
	v_and_b32_e32 v23, 7, v48
	v_cmp_gt_u32_e32 vcc, 8, v11
	v_cndmask_b32_e32 v10, v22, v10, vcc
	v_cndmask_b32_e32 v3, v3, v23, vcc
	v_lshlrev_b32_e32 v11, 16, v40
	v_lshlrev_b32_e32 v3, 20, v3
	v_and_b32_e32 v11, 0x80000000, v11
	v_lshl_add_u32 v10, v10, 23, v46
	v_or3_b32 v3, v11, v10, v3
.LBB2_397:                              ;   in Loop: Header=BB2_347 Depth=2
	s_or_b64 exec, exec, s[46:47]
.LBB2_398:                              ;   in Loop: Header=BB2_347 Depth=2
	s_or_b64 exec, exec, s[44:45]
.LBB2_399:                              ;   in Loop: Header=BB2_347 Depth=2
	s_or_b64 exec, exec, s[16:17]
	v_mul_f32_e32 v27, v9, v3
	v_and_b32_sdwa v3, v27, s61 dst_sel:DWORD dst_unused:UNUSED_PAD src0_sel:BYTE_3 src1_sel:DWORD
	v_and_b32_e32 v48, 0x7f800000, v27
	v_mov_b32_e32 v49, v41
	v_and_b32_e32 v10, 0x7fffff, v27
	v_mov_b32_e32 v11, v41
	v_or_b32_e32 v9, 0x7e, v3
	v_cmp_ne_u64_e32 vcc, s[36:37], v[48:49]
	s_and_saveexec_b64 s[16:17], vcc
	s_xor_b64 s[44:45], exec, s[16:17]
	s_cbranch_execz .LBB2_409
; %bb.400:                              ;   in Loop: Header=BB2_347 Depth=2
	v_and_b32_e32 v48, 0x7fffffff, v27
	v_mov_b32_e32 v49, v41
	v_cmp_gt_u64_e32 vcc, s[38:39], v[48:49]
	s_and_saveexec_b64 s[46:47], vcc
	s_cbranch_execz .LBB2_408
; %bb.401:                              ;   in Loop: Header=BB2_347 Depth=2
	v_cmp_ne_u32_e32 vcc, 0, v27
	v_mov_b32_e32 v9, 0
	s_and_saveexec_b64 s[48:49], vcc
	s_cbranch_execz .LBB2_407
; %bb.402:                              ;   in Loop: Header=BB2_347 Depth=2
	v_bfe_u32 v9, v27, 23, 8
	v_sub_u32_e32 v23, 0x79, v9
	v_cmp_gt_u32_e32 vcc, s63, v9
	v_add_u32_e32 v22, 0xffffff81, v9
	v_cndmask_b32_e32 v23, 0, v23, vcc
	v_cmp_eq_u32_e32 vcc, 0, v9
	v_cndmask_b32_e32 v9, v22, v47, vcc
	v_cndmask_b32_e32 v22, v23, v30, vcc
	v_add_u32_e32 v23, 20, v22
	v_or_b32_e32 v27, 0x800000, v10
	v_lshlrev_b64 v[48:49], v23, -1
	v_cndmask_b32_e32 v10, v27, v10, vcc
	v_not_b32_e32 v23, v49
	v_not_b32_e32 v27, v48
	v_and_b32_e32 v49, 0, v23
	v_and_b32_e32 v48, v10, v27
	v_add_u32_e32 v23, 19, v22
	v_lshrrev_b64 v[10:11], v22, v[10:11]
	v_lshlrev_b64 v[54:55], v23, 1
	v_lshrrev_b32_e32 v23, 23, v10
	v_add3_u32 v33, v22, v9, v23
	v_bfe_u32 v9, v10, 20, 1
	v_add_u32_e32 v9, -1, v9
	v_cmp_eq_u64_e32 vcc, v[48:49], v[54:55]
	v_cndmask_b32_e32 v9, 0, v9, vcc
	v_add_u32_e32 v9, v9, v10
	v_and_b32_e32 v9, 0xfffff, v9
	v_add_co_u32_e32 v10, vcc, v9, v10
	v_add_u32_e32 v27, 6, v33
	v_addc_co_u32_e32 v11, vcc, 0, v11, vcc
	v_cmp_ne_u32_e32 vcc, 0, v27
                                        ; implicit-def: $vgpr9
	s_and_saveexec_b64 s[16:17], vcc
	s_xor_b64 s[16:17], exec, s[16:17]
; %bb.403:                              ;   in Loop: Header=BB2_347 Depth=2
	v_cmp_lt_u64_e32 vcc, s[40:41], v[10:11]
	v_add_u32_e32 v9, 7, v33
	v_cndmask_b32_e64 v22, 0, 1, vcc
	v_cndmask_b32_e32 v9, v27, v9, vcc
	v_lshrrev_b64 v[10:11], v22, v[10:11]
; %bb.404:                              ;   in Loop: Header=BB2_347 Depth=2
	s_andn2_saveexec_b64 s[16:17], s[16:17]
; %bb.405:                              ;   in Loop: Header=BB2_347 Depth=2
	v_bfe_u32 v9, v10, 23, 1
; %bb.406:                              ;   in Loop: Header=BB2_347 Depth=2
	s_or_b64 exec, exec, s[16:17]
	v_lshrrev_b64 v[10:11], 20, v[10:11]
	v_cmp_gt_i32_e32 vcc, 16, v9
	v_cndmask_b32_e32 v11, 0, v11, vcc
	v_cndmask_b32_e32 v10, 7, v10, vcc
	v_cmp_eq_u32_e32 vcc, 0, v9
	v_min_i32_e32 v9, 15, v9
	v_cmp_eq_u64_e64 s[16:17], 0, v[10:11]
	v_lshlrev_b32_e32 v9, 3, v9
	v_and_or_b32 v9, v10, 7, v9
	s_and_b64 s[16:17], vcc, s[16:17]
	v_cndmask_b32_e64 v9, v9, 0, s[16:17]
	v_accvgpr_read_b32 v37, a9
	v_accvgpr_read_b32 v55, a41
	v_or_b32_e32 v9, v9, v3
	v_accvgpr_read_b32 v36, a8
	v_accvgpr_read_b32 v54, a40
.LBB2_407:                              ;   in Loop: Header=BB2_347 Depth=2
	s_or_b64 exec, exec, s[48:49]
.LBB2_408:                              ;   in Loop: Header=BB2_347 Depth=2
	s_or_b64 exec, exec, s[46:47]
                                        ; implicit-def: $vgpr27
                                        ; implicit-def: $vgpr10_vgpr11
.LBB2_409:                              ;   in Loop: Header=BB2_347 Depth=2
	s_andn2_saveexec_b64 s[16:17], s[44:45]
; %bb.410:                              ;   in Loop: Header=BB2_347 Depth=2
	v_or_b32_sdwa v3, v27, s62 dst_sel:DWORD dst_unused:UNUSED_PAD src0_sel:BYTE_3 src1_sel:DWORD
	v_cmp_eq_u64_e32 vcc, 0, v[10:11]
	v_cndmask_b32_e32 v9, v3, v9, vcc
; %bb.411:                              ;   in Loop: Header=BB2_347 Depth=2
	s_or_b64 exec, exec, s[16:17]
	v_lshrrev_b32_e32 v10, 16, v2
	v_cmp_ne_u16_sdwa vcc, v10, v41 src0_sel:BYTE_0 src1_sel:DWORD
	v_mov_b32_e32 v3, 0
	v_mov_b32_e32 v11, 0
	s_and_saveexec_b64 s[16:17], vcc
	s_cbranch_execz .LBB2_417
; %bb.412:                              ;   in Loop: Header=BB2_347 Depth=2
	v_cmp_ne_u16_sdwa vcc, v10, s61 src0_sel:BYTE_0 src1_sel:DWORD
	v_bfrev_b32_e32 v11, 1
	s_and_saveexec_b64 s[44:45], vcc
	s_cbranch_execz .LBB2_416
; %bb.413:                              ;   in Loop: Header=BB2_347 Depth=2
	v_bfe_u32 v27, v2, 16, 7
	v_cmp_ne_u32_e32 vcc, s62, v27
	v_mov_b32_e32 v11, 0x7f800001
	s_and_saveexec_b64 s[46:47], vcc
	s_cbranch_execz .LBB2_415
; %bb.414:                              ;   in Loop: Header=BB2_347 Depth=2
	v_and_b32_e32 v11, 7, v10
	v_ffbh_u32_e32 v23, v11
	v_min_u32_e32 v23, 32, v23
	v_subrev_u32_e32 v33, 28, v23
	v_lshlrev_b64 v[48:49], v33, v[10:11]
	v_lshrrev_b32_e32 v22, 3, v27
	v_sub_u32_e32 v23, 29, v23
	v_and_b32_e32 v33, 7, v48
	v_cmp_gt_u32_e32 vcc, 8, v27
	v_cndmask_b32_e32 v22, v22, v23, vcc
	v_cndmask_b32_e32 v11, v11, v33, vcc
	v_lshlrev_b32_e32 v10, 24, v10
	v_lshlrev_b32_e32 v11, 20, v11
	v_and_b32_e32 v10, 0x80000000, v10
	v_lshl_add_u32 v22, v22, 23, v46
	v_or3_b32 v11, v10, v22, v11
.LBB2_415:                              ;   in Loop: Header=BB2_347 Depth=2
	s_or_b64 exec, exec, s[46:47]
.LBB2_416:                              ;   in Loop: Header=BB2_347 Depth=2
	s_or_b64 exec, exec, s[44:45]
.LBB2_417:                              ;   in Loop: Header=BB2_347 Depth=2
	s_or_b64 exec, exec, s[16:17]
	v_and_b32_sdwa v27, v40, s60 dst_sel:DWORD dst_unused:UNUSED_PAD src0_sel:WORD_1 src1_sel:DWORD
	v_lshrrev_b32_e32 v10, 16, v40
	v_cmp_ne_u16_e32 vcc, 0, v27
	s_and_saveexec_b64 s[16:17], vcc
	s_cbranch_execz .LBB2_423
; %bb.418:                              ;   in Loop: Header=BB2_347 Depth=2
	v_cmp_ne_u16_e32 vcc, s61, v27
	v_bfrev_b32_e32 v3, 1
	s_and_saveexec_b64 s[44:45], vcc
	s_cbranch_execz .LBB2_422
; %bb.419:                              ;   in Loop: Header=BB2_347 Depth=2
	v_bfe_u32 v27, v40, 16, 7
	v_cmp_ne_u32_e32 vcc, s62, v27
	v_mov_b32_e32 v3, 0x7f800001
	s_and_saveexec_b64 s[46:47], vcc
	s_cbranch_execz .LBB2_421
; %bb.420:                              ;   in Loop: Header=BB2_347 Depth=2
	v_and_b32_e32 v3, 7, v10
	v_ffbh_u32_e32 v23, v3
	v_min_u32_e32 v23, 32, v23
	v_subrev_u32_e32 v33, 28, v23
	v_lshlrev_b64 v[48:49], v33, v[10:11]
	v_lshrrev_b32_e32 v22, 3, v27
	v_sub_u32_e32 v10, 29, v23
	v_and_b32_e32 v23, 7, v48
	v_cmp_gt_u32_e32 vcc, 8, v27
	v_cndmask_b32_e32 v10, v22, v10, vcc
	v_cndmask_b32_e32 v3, v3, v23, vcc
	v_lshlrev_b32_e32 v22, 8, v40
	v_lshlrev_b32_e32 v3, 20, v3
	v_and_b32_e32 v22, 0x80000000, v22
	v_lshl_add_u32 v10, v10, 23, v46
	v_or3_b32 v3, v22, v10, v3
.LBB2_421:                              ;   in Loop: Header=BB2_347 Depth=2
	s_or_b64 exec, exec, s[46:47]
.LBB2_422:                              ;   in Loop: Header=BB2_347 Depth=2
	s_or_b64 exec, exec, s[44:45]
.LBB2_423:                              ;   in Loop: Header=BB2_347 Depth=2
	s_or_b64 exec, exec, s[16:17]
	v_mul_f32_e32 v33, v11, v3
	v_and_b32_sdwa v3, v33, s61 dst_sel:DWORD dst_unused:UNUSED_PAD src0_sel:BYTE_3 src1_sel:DWORD
	v_and_b32_e32 v48, 0x7f800000, v33
	v_mov_b32_e32 v49, v41
	v_and_b32_e32 v10, 0x7fffff, v33
	v_mov_b32_e32 v11, v41
	v_or_b32_e32 v27, 0x7e, v3
	v_cmp_ne_u64_e32 vcc, s[36:37], v[48:49]
	s_and_saveexec_b64 s[16:17], vcc
	s_xor_b64 s[44:45], exec, s[16:17]
	s_cbranch_execz .LBB2_433
; %bb.424:                              ;   in Loop: Header=BB2_347 Depth=2
	v_and_b32_e32 v48, 0x7fffffff, v33
	v_mov_b32_e32 v49, v41
	v_cmp_gt_u64_e32 vcc, s[38:39], v[48:49]
	s_and_saveexec_b64 s[46:47], vcc
	s_cbranch_execz .LBB2_432
; %bb.425:                              ;   in Loop: Header=BB2_347 Depth=2
	v_cmp_ne_u32_e32 vcc, 0, v33
	v_mov_b32_e32 v27, 0
	s_and_saveexec_b64 s[48:49], vcc
	s_cbranch_execz .LBB2_431
; %bb.426:                              ;   in Loop: Header=BB2_347 Depth=2
	v_bfe_u32 v22, v33, 23, 8
	v_sub_u32_e32 v27, 0x79, v22
	v_cmp_gt_u32_e32 vcc, s63, v22
	v_add_u32_e32 v23, 0xffffff81, v22
	v_cndmask_b32_e32 v27, 0, v27, vcc
	v_cmp_eq_u32_e32 vcc, 0, v22
	v_cndmask_b32_e32 v22, v23, v47, vcc
	v_cndmask_b32_e32 v23, v27, v30, vcc
	v_add_u32_e32 v27, 20, v23
	v_or_b32_e32 v33, 0x800000, v10
	v_lshlrev_b64 v[48:49], v27, -1
	v_cndmask_b32_e32 v10, v33, v10, vcc
	v_not_b32_e32 v27, v49
	v_not_b32_e32 v33, v48
	v_and_b32_e32 v55, 0, v27
	v_and_b32_e32 v54, v10, v33
	v_add_u32_e32 v27, 19, v23
	v_lshrrev_b64 v[10:11], v23, v[10:11]
	v_lshlrev_b64 v[60:61], v27, 1
	v_lshrrev_b32_e32 v27, 23, v10
	v_add3_u32 v48, v23, v22, v27
	v_bfe_u32 v22, v10, 20, 1
	v_add_u32_e32 v22, -1, v22
	v_cmp_eq_u64_e32 vcc, v[54:55], v[60:61]
	v_cndmask_b32_e32 v22, 0, v22, vcc
	v_add_u32_e32 v22, v22, v10
	v_and_b32_e32 v22, 0xfffff, v22
	v_add_co_u32_e32 v10, vcc, v22, v10
	v_add_u32_e32 v33, 6, v48
	v_addc_co_u32_e32 v11, vcc, 0, v11, vcc
	v_cmp_ne_u32_e32 vcc, 0, v33
                                        ; implicit-def: $vgpr27
	s_and_saveexec_b64 s[16:17], vcc
	s_xor_b64 s[16:17], exec, s[16:17]
; %bb.427:                              ;   in Loop: Header=BB2_347 Depth=2
	v_add_u32_e32 v22, 7, v48
	v_cmp_lt_u64_e32 vcc, s[40:41], v[10:11]
	v_cndmask_b32_e32 v27, v33, v22, vcc
	v_cndmask_b32_e64 v22, 0, 1, vcc
	v_lshrrev_b64 v[10:11], v22, v[10:11]
; %bb.428:                              ;   in Loop: Header=BB2_347 Depth=2
	s_andn2_saveexec_b64 s[16:17], s[16:17]
; %bb.429:                              ;   in Loop: Header=BB2_347 Depth=2
	v_bfe_u32 v27, v10, 23, 1
; %bb.430:                              ;   in Loop: Header=BB2_347 Depth=2
	s_or_b64 exec, exec, s[16:17]
	v_lshrrev_b64 v[10:11], 20, v[10:11]
	v_cmp_gt_i32_e32 vcc, 16, v27
	v_cndmask_b32_e32 v11, 0, v11, vcc
	v_cndmask_b32_e32 v10, 7, v10, vcc
	v_cmp_eq_u64_e64 s[16:17], 0, v[10:11]
	v_min_i32_e32 v11, 15, v27
	v_cmp_eq_u32_e32 vcc, 0, v27
	v_lshlrev_b32_e32 v11, 3, v11
	v_and_or_b32 v10, v10, 7, v11
	s_and_b64 s[16:17], vcc, s[16:17]
	v_cndmask_b32_e64 v10, v10, 0, s[16:17]
	v_accvgpr_read_b32 v37, a9
	v_accvgpr_read_b32 v55, a41
	v_or_b32_e32 v27, v10, v3
	v_accvgpr_read_b32 v36, a8
	v_accvgpr_read_b32 v54, a40
.LBB2_431:                              ;   in Loop: Header=BB2_347 Depth=2
	s_or_b64 exec, exec, s[48:49]
.LBB2_432:                              ;   in Loop: Header=BB2_347 Depth=2
	s_or_b64 exec, exec, s[46:47]
                                        ; implicit-def: $vgpr33
                                        ; implicit-def: $vgpr10_vgpr11
.LBB2_433:                              ;   in Loop: Header=BB2_347 Depth=2
	s_andn2_saveexec_b64 s[16:17], s[44:45]
; %bb.434:                              ;   in Loop: Header=BB2_347 Depth=2
	v_or_b32_sdwa v3, v33, s62 dst_sel:DWORD dst_unused:UNUSED_PAD src0_sel:BYTE_3 src1_sel:DWORD
	v_cmp_eq_u64_e32 vcc, 0, v[10:11]
	v_cndmask_b32_e32 v27, v3, v27, vcc
; %bb.435:                              ;   in Loop: Header=BB2_347 Depth=2
	s_or_b64 exec, exec, s[16:17]
	v_cmp_lt_u32_e32 vcc, s64, v2
	v_mov_b32_e32 v3, 0
	v_mov_b32_e32 v11, 0
	s_and_saveexec_b64 s[16:17], vcc
	s_cbranch_execz .LBB2_441
; %bb.436:                              ;   in Loop: Header=BB2_347 Depth=2
	v_lshrrev_b32_e32 v10, 24, v2
	v_cmp_ne_u32_e32 vcc, s61, v10
	v_bfrev_b32_e32 v11, 1
	s_and_saveexec_b64 s[44:45], vcc
	s_cbranch_execz .LBB2_440
; %bb.437:                              ;   in Loop: Header=BB2_347 Depth=2
	v_bfe_u32 v2, v2, 24, 7
	v_cmp_ne_u32_e32 vcc, s62, v2
	v_mov_b32_e32 v11, 0x7f800001
	s_and_saveexec_b64 s[46:47], vcc
	s_cbranch_execz .LBB2_439
; %bb.438:                              ;   in Loop: Header=BB2_347 Depth=2
	v_and_b32_e32 v11, 7, v10
	v_ffbh_u32_e32 v23, v11
	v_min_u32_e32 v23, 32, v23
	v_subrev_u32_e32 v33, 28, v23
	v_lshlrev_b64 v[48:49], v33, v[10:11]
	v_lshrrev_b32_e32 v22, 3, v2
	v_sub_u32_e32 v23, 29, v23
	v_and_b32_e32 v33, 7, v48
	v_cmp_gt_u32_e32 vcc, 8, v2
	v_cndmask_b32_e32 v2, v22, v23, vcc
	v_cndmask_b32_e32 v11, v11, v33, vcc
	v_lshlrev_b32_e32 v10, 24, v10
	v_lshlrev_b32_e32 v11, 20, v11
	v_and_b32_e32 v10, 0x80000000, v10
	v_lshl_add_u32 v2, v2, 23, v46
	v_or3_b32 v11, v10, v2, v11
.LBB2_439:                              ;   in Loop: Header=BB2_347 Depth=2
	s_or_b64 exec, exec, s[46:47]
.LBB2_440:                              ;   in Loop: Header=BB2_347 Depth=2
	s_or_b64 exec, exec, s[44:45]
.LBB2_441:                              ;   in Loop: Header=BB2_347 Depth=2
	s_or_b64 exec, exec, s[16:17]
	v_cmp_lt_u32_e32 vcc, s64, v40
	s_and_saveexec_b64 s[16:17], vcc
	s_cbranch_execz .LBB2_447
; %bb.442:                              ;   in Loop: Header=BB2_347 Depth=2
	v_lshrrev_b32_e32 v2, 24, v40
	v_cmp_ne_u32_sdwa vcc, v40, s61 src0_sel:BYTE_3 src1_sel:DWORD
	v_bfrev_b32_e32 v3, 1
	s_and_saveexec_b64 s[44:45], vcc
	s_cbranch_execz .LBB2_446
; %bb.443:                              ;   in Loop: Header=BB2_347 Depth=2
	v_bfe_u32 v10, v40, 24, 7
	v_cmp_ne_u32_e32 vcc, s62, v10
	v_mov_b32_e32 v3, 0x7f800001
	s_and_saveexec_b64 s[46:47], vcc
	s_cbranch_execz .LBB2_445
; %bb.444:                              ;   in Loop: Header=BB2_347 Depth=2
	v_and_b32_e32 v22, 7, v2
	v_ffbh_u32_e32 v3, v22
	v_min_u32_e32 v33, 32, v3
	v_subrev_u32_e32 v3, 28, v33
	v_lshlrev_b64 v[2:3], v3, v[2:3]
	v_lshrrev_b32_e32 v23, 3, v10
	v_sub_u32_e32 v3, 29, v33
	v_and_b32_e32 v2, 7, v2
	v_cmp_gt_u32_e32 vcc, 8, v10
	v_cndmask_b32_e32 v3, v23, v3, vcc
	v_cndmask_b32_e32 v2, v22, v2, vcc
	v_lshlrev_b32_sdwa v10, v6, v40 dst_sel:DWORD dst_unused:UNUSED_PAD src0_sel:DWORD src1_sel:BYTE_3
	v_lshlrev_b32_e32 v2, 20, v2
	v_and_b32_e32 v10, 0x80000000, v10
	v_lshl_add_u32 v3, v3, 23, v46
	v_or3_b32 v3, v10, v3, v2
.LBB2_445:                              ;   in Loop: Header=BB2_347 Depth=2
	s_or_b64 exec, exec, s[46:47]
.LBB2_446:                              ;   in Loop: Header=BB2_347 Depth=2
	s_or_b64 exec, exec, s[44:45]
.LBB2_447:                              ;   in Loop: Header=BB2_347 Depth=2
	s_or_b64 exec, exec, s[16:17]
	v_mul_f32_e32 v2, v11, v3
	v_and_b32_sdwa v11, v2, s61 dst_sel:DWORD dst_unused:UNUSED_PAD src0_sel:BYTE_3 src1_sel:DWORD
	v_and_b32_e32 v48, 0x7f800000, v2
	v_mov_b32_e32 v49, v41
	v_and_b32_e32 v40, 0x7fffff, v2
	v_or_b32_e32 v10, 0x7e, v11
	v_cmp_ne_u64_e32 vcc, s[36:37], v[48:49]
	s_and_saveexec_b64 s[16:17], vcc
	s_xor_b64 s[44:45], exec, s[16:17]
	s_cbranch_execz .LBB2_457
; %bb.448:                              ;   in Loop: Header=BB2_347 Depth=2
	v_and_b32_e32 v48, 0x7fffffff, v2
	v_mov_b32_e32 v49, v41
	v_cmp_gt_u64_e32 vcc, s[38:39], v[48:49]
	s_and_saveexec_b64 s[46:47], vcc
	s_cbranch_execz .LBB2_456
; %bb.449:                              ;   in Loop: Header=BB2_347 Depth=2
	v_cmp_ne_u32_e32 vcc, 0, v2
	v_mov_b32_e32 v10, 0
	s_and_saveexec_b64 s[48:49], vcc
	s_cbranch_execz .LBB2_455
; %bb.450:                              ;   in Loop: Header=BB2_347 Depth=2
	v_bfe_u32 v2, v2, 23, 8
	v_sub_u32_e32 v10, 0x79, v2
	v_cmp_gt_u32_e32 vcc, s63, v2
	v_cndmask_b32_e32 v10, 0, v10, vcc
	v_cmp_eq_u32_e32 vcc, 0, v2
	v_or_b32_e32 v22, 0x800000, v40
	v_cndmask_b32_e32 v10, v10, v30, vcc
	v_add_u32_e32 v3, 0xffffff81, v2
	v_cndmask_b32_e32 v40, v22, v40, vcc
	v_add_u32_e32 v2, 20, v10
	v_cndmask_b32_e32 v23, v3, v47, vcc
	v_lshlrev_b64 v[2:3], v2, -1
	v_add_u32_e32 v22, 19, v10
	v_lshrrev_b64 v[60:61], v10, v[40:41]
	v_not_b32_e32 v3, v3
	v_not_b32_e32 v2, v2
	v_lshlrev_b64 v[54:55], v22, 1
	v_lshrrev_b32_e32 v22, 23, v60
	v_and_b32_e32 v3, 0, v3
	v_and_b32_e32 v2, v40, v2
	v_add3_u32 v48, v10, v23, v22
	v_bfe_u32 v10, v60, 20, 1
	v_add_u32_e32 v10, -1, v10
	v_cmp_eq_u64_e32 vcc, v[2:3], v[54:55]
	v_cndmask_b32_e32 v2, 0, v10, vcc
	v_add_u32_e32 v2, v2, v60
	v_and_b32_e32 v2, 0xfffff, v2
	v_add_co_u32_e32 v2, vcc, v2, v60
	v_add_u32_e32 v33, 6, v48
	v_addc_co_u32_e32 v3, vcc, 0, v61, vcc
	v_cmp_ne_u32_e32 vcc, 0, v33
                                        ; implicit-def: $vgpr10
	s_and_saveexec_b64 s[16:17], vcc
	s_xor_b64 s[16:17], exec, s[16:17]
; %bb.451:                              ;   in Loop: Header=BB2_347 Depth=2
	v_cmp_lt_u64_e32 vcc, s[40:41], v[2:3]
	v_add_u32_e32 v10, 7, v48
	v_cndmask_b32_e64 v22, 0, 1, vcc
	v_cndmask_b32_e32 v10, v33, v10, vcc
	v_lshrrev_b64 v[2:3], v22, v[2:3]
; %bb.452:                              ;   in Loop: Header=BB2_347 Depth=2
	s_andn2_saveexec_b64 s[16:17], s[16:17]
; %bb.453:                              ;   in Loop: Header=BB2_347 Depth=2
	v_bfe_u32 v10, v2, 23, 1
; %bb.454:                              ;   in Loop: Header=BB2_347 Depth=2
	s_or_b64 exec, exec, s[16:17]
	v_lshrrev_b64 v[2:3], 20, v[2:3]
	v_cmp_gt_i32_e32 vcc, 16, v10
	v_cndmask_b32_e32 v3, 0, v3, vcc
	v_cndmask_b32_e32 v2, 7, v2, vcc
	v_cmp_eq_u64_e64 s[16:17], 0, v[2:3]
	v_min_i32_e32 v3, 15, v10
	v_cmp_eq_u32_e32 vcc, 0, v10
	v_lshlrev_b32_e32 v3, 3, v3
	v_and_or_b32 v2, v2, 7, v3
	s_and_b64 s[16:17], vcc, s[16:17]
	v_cndmask_b32_e64 v2, v2, 0, s[16:17]
	v_accvgpr_read_b32 v37, a9
	v_accvgpr_read_b32 v55, a41
	v_or_b32_e32 v10, v2, v11
	v_accvgpr_read_b32 v36, a8
	v_accvgpr_read_b32 v54, a40
.LBB2_455:                              ;   in Loop: Header=BB2_347 Depth=2
	s_or_b64 exec, exec, s[48:49]
.LBB2_456:                              ;   in Loop: Header=BB2_347 Depth=2
	s_or_b64 exec, exec, s[46:47]
                                        ; implicit-def: $vgpr2
.LBB2_457:                              ;   in Loop: Header=BB2_347 Depth=2
	s_andn2_saveexec_b64 s[16:17], s[44:45]
; %bb.458:                              ;   in Loop: Header=BB2_347 Depth=2
	v_or_b32_sdwa v2, v2, s62 dst_sel:DWORD dst_unused:UNUSED_PAD src0_sel:BYTE_3 src1_sel:DWORD
	v_cmp_eq_u64_e32 vcc, 0, v[40:41]
	v_cndmask_b32_e32 v10, v2, v10, vcc
; %bb.459:                              ;   in Loop: Header=BB2_347 Depth=2
	s_or_b64 exec, exec, s[16:17]
	v_cmp_ne_u16_sdwa vcc, v4, v41 src0_sel:BYTE_0 src1_sel:DWORD
	v_mov_b32_e32 v2, 0
	v_mov_b32_e32 v3, 0
	s_and_saveexec_b64 s[16:17], vcc
	s_cbranch_execz .LBB2_465
; %bb.460:                              ;   in Loop: Header=BB2_347 Depth=2
	v_cmp_ne_u16_sdwa vcc, v4, s61 src0_sel:BYTE_0 src1_sel:DWORD
	v_bfrev_b32_e32 v3, 1
	s_and_saveexec_b64 s[44:45], vcc
	s_cbranch_execz .LBB2_464
; %bb.461:                              ;   in Loop: Header=BB2_347 Depth=2
	v_and_b32_e32 v11, 0x7f, v4
	v_cmp_ne_u32_e32 vcc, s62, v11
	v_mov_b32_e32 v3, 0x7f800001
	s_and_saveexec_b64 s[46:47], vcc
	s_cbranch_execz .LBB2_463
; %bb.462:                              ;   in Loop: Header=BB2_347 Depth=2
	v_and_b32_e32 v3, 7, v4
	v_ffbh_u32_e32 v3, v3
	v_min_u32_e32 v3, 32, v3
	v_subrev_u32_e32 v23, 28, v3
	v_cmp_gt_u32_e32 vcc, 8, v11
	v_lshrrev_b32_e32 v22, 3, v11
	v_cndmask_b32_e32 v11, 0, v23, vcc
	v_sub_u32_e32 v3, 29, v3
	v_lshlrev_b64 v[48:49], v11, v[4:5]
	v_cndmask_b32_e32 v3, v22, v3, vcc
	v_lshlrev_b32_e32 v5, 20, v48
	v_lshlrev_b32_e32 v11, 24, v4
	v_and_b32_e32 v5, 0x700000, v5
	v_and_b32_e32 v11, 0x80000000, v11
	v_lshl_add_u32 v3, v3, 23, v46
	v_or3_b32 v3, v11, v3, v5
.LBB2_463:                              ;   in Loop: Header=BB2_347 Depth=2
	s_or_b64 exec, exec, s[46:47]
.LBB2_464:                              ;   in Loop: Header=BB2_347 Depth=2
	s_or_b64 exec, exec, s[44:45]
.LBB2_465:                              ;   in Loop: Header=BB2_347 Depth=2
	s_or_b64 exec, exec, s[16:17]
	v_alignbit_b32 v40, v29, v31, v32
	v_cmp_ne_u16_sdwa vcc, v40, v41 src0_sel:BYTE_0 src1_sel:DWORD
	s_and_saveexec_b64 s[16:17], vcc
	s_cbranch_execz .LBB2_471
; %bb.466:                              ;   in Loop: Header=BB2_347 Depth=2
	v_cmp_ne_u16_sdwa vcc, v40, s61 src0_sel:BYTE_0 src1_sel:DWORD
	v_bfrev_b32_e32 v2, 1
	s_and_saveexec_b64 s[44:45], vcc
	s_cbranch_execz .LBB2_470
; %bb.467:                              ;   in Loop: Header=BB2_347 Depth=2
	v_and_b32_e32 v5, 0x7f, v40
	v_cmp_ne_u32_e32 vcc, s62, v5
	v_mov_b32_e32 v2, 0x7f800001
	s_and_saveexec_b64 s[46:47], vcc
	s_cbranch_execz .LBB2_469
; %bb.468:                              ;   in Loop: Header=BB2_347 Depth=2
	v_and_b32_e32 v2, 7, v40
	v_ffbh_u32_e32 v2, v2
	v_min_u32_e32 v2, 32, v2
	v_subrev_u32_e32 v22, 28, v2
	v_cmp_gt_u32_e32 vcc, 8, v5
	v_lshrrev_b32_e32 v11, 3, v5
	v_cndmask_b32_e32 v5, 0, v22, vcc
	v_sub_u32_e32 v2, 29, v2
	v_lshlrev_b64 v[32:33], v5, v[40:41]
	v_cndmask_b32_e32 v2, v11, v2, vcc
	v_lshlrev_b32_e32 v5, 20, v32
	v_lshlrev_b32_e32 v11, 24, v40
	v_and_b32_e32 v5, 0x700000, v5
	v_and_b32_e32 v11, 0x80000000, v11
	v_lshl_add_u32 v2, v2, 23, v46
	v_or3_b32 v2, v11, v2, v5
.LBB2_469:                              ;   in Loop: Header=BB2_347 Depth=2
	s_or_b64 exec, exec, s[46:47]
.LBB2_470:                              ;   in Loop: Header=BB2_347 Depth=2
	s_or_b64 exec, exec, s[44:45]
.LBB2_471:                              ;   in Loop: Header=BB2_347 Depth=2
	s_or_b64 exec, exec, s[16:17]
	v_mul_f32_e32 v29, v3, v2
	v_and_b32_sdwa v11, v29, s61 dst_sel:DWORD dst_unused:UNUSED_PAD src0_sel:BYTE_3 src1_sel:DWORD
	v_and_b32_e32 v32, 0x7f800000, v29
	v_mov_b32_e32 v33, v41
	v_and_b32_e32 v2, 0x7fffff, v29
	v_mov_b32_e32 v3, v41
	v_or_b32_e32 v5, 0x7e, v11
	v_cmp_ne_u64_e32 vcc, s[36:37], v[32:33]
	s_and_saveexec_b64 s[16:17], vcc
	s_xor_b64 s[44:45], exec, s[16:17]
	s_cbranch_execz .LBB2_481
; %bb.472:                              ;   in Loop: Header=BB2_347 Depth=2
	v_and_b32_e32 v32, 0x7fffffff, v29
	v_mov_b32_e32 v33, v41
	v_cmp_gt_u64_e32 vcc, s[38:39], v[32:33]
	s_and_saveexec_b64 s[46:47], vcc
	s_cbranch_execz .LBB2_480
; %bb.473:                              ;   in Loop: Header=BB2_347 Depth=2
	v_cmp_ne_u32_e32 vcc, 0, v29
	v_mov_b32_e32 v5, 0
	s_and_saveexec_b64 s[48:49], vcc
	s_cbranch_execz .LBB2_479
; %bb.474:                              ;   in Loop: Header=BB2_347 Depth=2
	v_bfe_u32 v5, v29, 23, 8
	v_sub_u32_e32 v23, 0x79, v5
	v_cmp_gt_u32_e32 vcc, s63, v5
	v_add_u32_e32 v22, 0xffffff81, v5
	v_cndmask_b32_e32 v23, 0, v23, vcc
	v_cmp_eq_u32_e32 vcc, 0, v5
	v_cndmask_b32_e32 v5, v22, v47, vcc
	v_cndmask_b32_e32 v22, v23, v30, vcc
	v_add_u32_e32 v23, 20, v22
	v_or_b32_e32 v29, 0x800000, v2
	v_lshlrev_b64 v[32:33], v23, -1
	v_cndmask_b32_e32 v2, v29, v2, vcc
	v_not_b32_e32 v23, v33
	v_not_b32_e32 v29, v32
	v_and_b32_e32 v33, 0, v23
	v_and_b32_e32 v32, v2, v29
	v_add_u32_e32 v23, 19, v22
	v_lshrrev_b64 v[2:3], v22, v[2:3]
	v_lshlrev_b64 v[48:49], v23, 1
	v_lshrrev_b32_e32 v23, 23, v2
	v_add3_u32 v31, v22, v5, v23
	v_bfe_u32 v5, v2, 20, 1
	v_add_u32_e32 v5, -1, v5
	v_cmp_eq_u64_e32 vcc, v[32:33], v[48:49]
	v_cndmask_b32_e32 v5, 0, v5, vcc
	v_add_u32_e32 v5, v5, v2
	v_and_b32_e32 v5, 0xfffff, v5
	v_add_co_u32_e32 v2, vcc, v5, v2
	v_add_u32_e32 v29, 6, v31
	v_addc_co_u32_e32 v3, vcc, 0, v3, vcc
	v_cmp_ne_u32_e32 vcc, 0, v29
                                        ; implicit-def: $vgpr5
	s_and_saveexec_b64 s[16:17], vcc
	s_xor_b64 s[16:17], exec, s[16:17]
; %bb.475:                              ;   in Loop: Header=BB2_347 Depth=2
	v_cmp_lt_u64_e32 vcc, s[40:41], v[2:3]
	v_add_u32_e32 v5, 7, v31
	v_cndmask_b32_e64 v22, 0, 1, vcc
	v_cndmask_b32_e32 v5, v29, v5, vcc
	v_lshrrev_b64 v[2:3], v22, v[2:3]
; %bb.476:                              ;   in Loop: Header=BB2_347 Depth=2
	s_andn2_saveexec_b64 s[16:17], s[16:17]
; %bb.477:                              ;   in Loop: Header=BB2_347 Depth=2
	v_bfe_u32 v5, v2, 23, 1
; %bb.478:                              ;   in Loop: Header=BB2_347 Depth=2
	s_or_b64 exec, exec, s[16:17]
	v_lshrrev_b64 v[2:3], 20, v[2:3]
	v_cmp_gt_i32_e32 vcc, 16, v5
	v_cndmask_b32_e32 v3, 0, v3, vcc
	v_cndmask_b32_e32 v2, 7, v2, vcc
	v_cmp_eq_u64_e64 s[16:17], 0, v[2:3]
	v_min_i32_e32 v3, 15, v5
	v_cmp_eq_u32_e32 vcc, 0, v5
	v_lshlrev_b32_e32 v3, 3, v3
	v_and_or_b32 v2, v2, 7, v3
	s_and_b64 s[16:17], vcc, s[16:17]
	v_cndmask_b32_e64 v2, v2, 0, s[16:17]
	v_or_b32_e32 v5, v2, v11
.LBB2_479:                              ;   in Loop: Header=BB2_347 Depth=2
	s_or_b64 exec, exec, s[48:49]
.LBB2_480:                              ;   in Loop: Header=BB2_347 Depth=2
	s_or_b64 exec, exec, s[46:47]
                                        ; implicit-def: $vgpr29
                                        ; implicit-def: $vgpr2_vgpr3
.LBB2_481:                              ;   in Loop: Header=BB2_347 Depth=2
	s_andn2_saveexec_b64 s[16:17], s[44:45]
; %bb.482:                              ;   in Loop: Header=BB2_347 Depth=2
	v_or_b32_sdwa v11, v29, s62 dst_sel:DWORD dst_unused:UNUSED_PAD src0_sel:BYTE_3 src1_sel:DWORD
	v_cmp_eq_u64_e32 vcc, 0, v[2:3]
	v_cndmask_b32_e32 v5, v11, v5, vcc
; %bb.483:                              ;   in Loop: Header=BB2_347 Depth=2
	s_or_b64 exec, exec, s[16:17]
	v_lshrrev_b16_e32 v2, 8, v4
	v_cmp_ne_u16_e32 vcc, 0, v2
	v_mov_b32_e32 v3, 0
	v_mov_b32_e32 v11, 0
	s_and_saveexec_b64 s[16:17], vcc
	s_cbranch_execz .LBB2_489
; %bb.484:                              ;   in Loop: Header=BB2_347 Depth=2
	v_cmp_ne_u16_e32 vcc, s61, v2
	v_bfrev_b32_e32 v11, 1
	s_and_saveexec_b64 s[44:45], vcc
	s_cbranch_execz .LBB2_488
; %bb.485:                              ;   in Loop: Header=BB2_347 Depth=2
	v_and_b32_e32 v29, 0x7f, v2
	v_cmp_ne_u32_e32 vcc, s62, v29
	v_mov_b32_e32 v11, 0x7f800001
	s_and_saveexec_b64 s[46:47], vcc
	s_cbranch_execz .LBB2_487
; %bb.486:                              ;   in Loop: Header=BB2_347 Depth=2
	v_and_b32_e32 v11, 7, v2
	v_ffbh_u32_e32 v23, v11
	v_min_u32_e32 v23, 32, v23
	v_subrev_u32_e32 v31, 28, v23
	v_lshlrev_b64 v[32:33], v31, v[2:3]
	v_lshrrev_b32_e32 v22, 3, v29
	v_sub_u32_e32 v2, 29, v23
	v_and_b32_e32 v23, 7, v32
	v_cmp_gt_u32_e32 vcc, 8, v29
	v_cndmask_b32_e32 v2, v22, v2, vcc
	v_cndmask_b32_e32 v11, v11, v23, vcc
	v_lshlrev_b32_e32 v22, 16, v4
	v_lshlrev_b32_e32 v11, 20, v11
	v_and_b32_e32 v22, 0x80000000, v22
	v_lshl_add_u32 v2, v2, 23, v46
	v_or3_b32 v11, v22, v2, v11
.LBB2_487:                              ;   in Loop: Header=BB2_347 Depth=2
	s_or_b64 exec, exec, s[46:47]
.LBB2_488:                              ;   in Loop: Header=BB2_347 Depth=2
	s_or_b64 exec, exec, s[44:45]
.LBB2_489:                              ;   in Loop: Header=BB2_347 Depth=2
	s_or_b64 exec, exec, s[16:17]
	v_lshrrev_b16_e32 v2, 8, v40
	v_cmp_ne_u16_e32 vcc, 0, v2
	s_and_saveexec_b64 s[16:17], vcc
	s_cbranch_execz .LBB2_495
; %bb.490:                              ;   in Loop: Header=BB2_347 Depth=2
	v_cmp_ne_u16_e32 vcc, s61, v2
	v_bfrev_b32_e32 v3, 1
	s_and_saveexec_b64 s[44:45], vcc
	s_cbranch_execz .LBB2_494
; %bb.491:                              ;   in Loop: Header=BB2_347 Depth=2
	v_and_b32_e32 v29, 0x7f, v2
	v_cmp_ne_u32_e32 vcc, s62, v29
	v_mov_b32_e32 v3, 0x7f800001
	s_and_saveexec_b64 s[46:47], vcc
	s_cbranch_execz .LBB2_493
; %bb.492:                              ;   in Loop: Header=BB2_347 Depth=2
	v_and_b32_e32 v22, 7, v2
	v_ffbh_u32_e32 v3, v22
	v_min_u32_e32 v31, 32, v3
	v_subrev_u32_e32 v3, 28, v31
	v_lshlrev_b64 v[2:3], v3, v[2:3]
	v_lshrrev_b32_e32 v23, 3, v29
	v_sub_u32_e32 v3, 29, v31
	v_and_b32_e32 v2, 7, v2
	v_cmp_gt_u32_e32 vcc, 8, v29
	v_cndmask_b32_e32 v3, v23, v3, vcc
	v_cndmask_b32_e32 v2, v22, v2, vcc
	v_lshlrev_b32_e32 v22, 16, v40
	v_lshlrev_b32_e32 v2, 20, v2
	v_and_b32_e32 v22, 0x80000000, v22
	v_lshl_add_u32 v3, v3, 23, v46
	v_or3_b32 v3, v22, v3, v2
.LBB2_493:                              ;   in Loop: Header=BB2_347 Depth=2
	s_or_b64 exec, exec, s[46:47]
.LBB2_494:                              ;   in Loop: Header=BB2_347 Depth=2
	s_or_b64 exec, exec, s[44:45]
.LBB2_495:                              ;   in Loop: Header=BB2_347 Depth=2
	s_or_b64 exec, exec, s[16:17]
	v_mul_f32_e32 v31, v11, v3
	v_and_b32_sdwa v29, v31, s61 dst_sel:DWORD dst_unused:UNUSED_PAD src0_sel:BYTE_3 src1_sel:DWORD
	v_and_b32_e32 v32, 0x7f800000, v31
	v_mov_b32_e32 v33, v41
	v_and_b32_e32 v2, 0x7fffff, v31
	v_mov_b32_e32 v3, v41
	v_or_b32_e32 v11, 0x7e, v29
	v_cmp_ne_u64_e32 vcc, s[36:37], v[32:33]
	s_and_saveexec_b64 s[16:17], vcc
	s_xor_b64 s[44:45], exec, s[16:17]
	s_cbranch_execz .LBB2_505
; %bb.496:                              ;   in Loop: Header=BB2_347 Depth=2
	v_and_b32_e32 v32, 0x7fffffff, v31
	v_mov_b32_e32 v33, v41
	v_cmp_gt_u64_e32 vcc, s[38:39], v[32:33]
	s_and_saveexec_b64 s[46:47], vcc
	s_cbranch_execz .LBB2_504
; %bb.497:                              ;   in Loop: Header=BB2_347 Depth=2
	v_cmp_ne_u32_e32 vcc, 0, v31
	v_mov_b32_e32 v11, 0
	s_and_saveexec_b64 s[48:49], vcc
	s_cbranch_execz .LBB2_503
; %bb.498:                              ;   in Loop: Header=BB2_347 Depth=2
	v_bfe_u32 v11, v31, 23, 8
	v_sub_u32_e32 v23, 0x79, v11
	v_cmp_gt_u32_e32 vcc, s63, v11
	v_add_u32_e32 v22, 0xffffff81, v11
	v_cndmask_b32_e32 v23, 0, v23, vcc
	v_cmp_eq_u32_e32 vcc, 0, v11
	v_cndmask_b32_e32 v11, v22, v47, vcc
	v_cndmask_b32_e32 v22, v23, v30, vcc
	v_add_u32_e32 v23, 20, v22
	v_or_b32_e32 v31, 0x800000, v2
	v_lshlrev_b64 v[32:33], v23, -1
	v_cndmask_b32_e32 v2, v31, v2, vcc
	v_not_b32_e32 v23, v33
	v_not_b32_e32 v31, v32
	v_and_b32_e32 v49, 0, v23
	v_and_b32_e32 v48, v2, v31
	v_add_u32_e32 v23, 19, v22
	v_lshrrev_b64 v[2:3], v22, v[2:3]
	v_lshlrev_b64 v[54:55], v23, 1
	v_lshrrev_b32_e32 v23, 23, v2
	v_add3_u32 v32, v22, v11, v23
	v_bfe_u32 v11, v2, 20, 1
	v_add_u32_e32 v11, -1, v11
	v_cmp_eq_u64_e32 vcc, v[48:49], v[54:55]
	v_cndmask_b32_e32 v11, 0, v11, vcc
	v_add_u32_e32 v11, v11, v2
	v_and_b32_e32 v11, 0xfffff, v11
	v_add_co_u32_e32 v2, vcc, v11, v2
	v_add_u32_e32 v31, 6, v32
	v_addc_co_u32_e32 v3, vcc, 0, v3, vcc
	v_cmp_ne_u32_e32 vcc, 0, v31
                                        ; implicit-def: $vgpr11
	s_and_saveexec_b64 s[16:17], vcc
	s_xor_b64 s[16:17], exec, s[16:17]
; %bb.499:                              ;   in Loop: Header=BB2_347 Depth=2
	v_cmp_lt_u64_e32 vcc, s[40:41], v[2:3]
	v_add_u32_e32 v11, 7, v32
	v_cndmask_b32_e64 v22, 0, 1, vcc
	v_cndmask_b32_e32 v11, v31, v11, vcc
	v_lshrrev_b64 v[2:3], v22, v[2:3]
; %bb.500:                              ;   in Loop: Header=BB2_347 Depth=2
	s_andn2_saveexec_b64 s[16:17], s[16:17]
; %bb.501:                              ;   in Loop: Header=BB2_347 Depth=2
	v_bfe_u32 v11, v2, 23, 1
; %bb.502:                              ;   in Loop: Header=BB2_347 Depth=2
	s_or_b64 exec, exec, s[16:17]
	v_lshrrev_b64 v[2:3], 20, v[2:3]
	v_cmp_gt_i32_e32 vcc, 16, v11
	v_cndmask_b32_e32 v3, 0, v3, vcc
	v_cndmask_b32_e32 v2, 7, v2, vcc
	v_cmp_eq_u64_e64 s[16:17], 0, v[2:3]
	v_min_i32_e32 v3, 15, v11
	v_cmp_eq_u32_e32 vcc, 0, v11
	v_lshlrev_b32_e32 v3, 3, v3
	v_and_or_b32 v2, v2, 7, v3
	s_and_b64 s[16:17], vcc, s[16:17]
	v_cndmask_b32_e64 v2, v2, 0, s[16:17]
	v_accvgpr_read_b32 v37, a9
	v_accvgpr_read_b32 v55, a41
	v_or_b32_e32 v11, v2, v29
	v_accvgpr_read_b32 v36, a8
	v_accvgpr_read_b32 v54, a40
.LBB2_503:                              ;   in Loop: Header=BB2_347 Depth=2
	s_or_b64 exec, exec, s[48:49]
.LBB2_504:                              ;   in Loop: Header=BB2_347 Depth=2
	s_or_b64 exec, exec, s[46:47]
                                        ; implicit-def: $vgpr31
                                        ; implicit-def: $vgpr2_vgpr3
.LBB2_505:                              ;   in Loop: Header=BB2_347 Depth=2
	s_andn2_saveexec_b64 s[16:17], s[44:45]
; %bb.506:                              ;   in Loop: Header=BB2_347 Depth=2
	v_or_b32_sdwa v22, v31, s62 dst_sel:DWORD dst_unused:UNUSED_PAD src0_sel:BYTE_3 src1_sel:DWORD
	v_cmp_eq_u64_e32 vcc, 0, v[2:3]
	v_cndmask_b32_e32 v11, v22, v11, vcc
; %bb.507:                              ;   in Loop: Header=BB2_347 Depth=2
	s_or_b64 exec, exec, s[16:17]
	v_lshrrev_b32_e32 v2, 16, v4
	v_cmp_ne_u16_sdwa vcc, v2, v41 src0_sel:BYTE_0 src1_sel:DWORD
	v_mov_b32_e32 v3, 0
	v_mov_b32_e32 v29, 0
	s_and_saveexec_b64 s[16:17], vcc
	s_cbranch_execz .LBB2_513
; %bb.508:                              ;   in Loop: Header=BB2_347 Depth=2
	v_cmp_ne_u16_sdwa vcc, v2, s61 src0_sel:BYTE_0 src1_sel:DWORD
	v_bfrev_b32_e32 v29, 1
	s_and_saveexec_b64 s[44:45], vcc
	s_cbranch_execz .LBB2_512
; %bb.509:                              ;   in Loop: Header=BB2_347 Depth=2
	v_bfe_u32 v31, v4, 16, 7
	v_cmp_ne_u32_e32 vcc, s62, v31
	v_mov_b32_e32 v29, 0x7f800001
	s_and_saveexec_b64 s[46:47], vcc
	s_cbranch_execz .LBB2_511
; %bb.510:                              ;   in Loop: Header=BB2_347 Depth=2
	v_and_b32_e32 v22, 7, v2
	v_ffbh_u32_e32 v29, v22
	v_min_u32_e32 v29, 32, v29
	v_subrev_u32_e32 v32, 28, v29
	v_lshlrev_b64 v[32:33], v32, v[2:3]
	v_lshrrev_b32_e32 v23, 3, v31
	v_sub_u32_e32 v29, 29, v29
	v_and_b32_e32 v32, 7, v32
	v_cmp_gt_u32_e32 vcc, 8, v31
	v_cndmask_b32_e32 v23, v23, v29, vcc
	v_cndmask_b32_e32 v22, v22, v32, vcc
	v_lshlrev_b32_e32 v2, 24, v2
	v_lshlrev_b32_e32 v22, 20, v22
	v_and_b32_e32 v2, 0x80000000, v2
	v_lshl_add_u32 v23, v23, 23, v46
	v_or3_b32 v29, v2, v23, v22
.LBB2_511:                              ;   in Loop: Header=BB2_347 Depth=2
	s_or_b64 exec, exec, s[46:47]
.LBB2_512:                              ;   in Loop: Header=BB2_347 Depth=2
	s_or_b64 exec, exec, s[44:45]
.LBB2_513:                              ;   in Loop: Header=BB2_347 Depth=2
	s_or_b64 exec, exec, s[16:17]
	v_and_b32_sdwa v31, v40, s60 dst_sel:DWORD dst_unused:UNUSED_PAD src0_sel:WORD_1 src1_sel:DWORD
	v_lshrrev_b32_e32 v2, 16, v40
	v_cmp_ne_u16_e32 vcc, 0, v31
	s_and_saveexec_b64 s[16:17], vcc
	s_cbranch_execz .LBB2_519
; %bb.514:                              ;   in Loop: Header=BB2_347 Depth=2
	v_cmp_ne_u16_e32 vcc, s61, v31
	v_bfrev_b32_e32 v3, 1
	s_and_saveexec_b64 s[44:45], vcc
	s_cbranch_execz .LBB2_518
; %bb.515:                              ;   in Loop: Header=BB2_347 Depth=2
	v_bfe_u32 v31, v40, 16, 7
	v_cmp_ne_u32_e32 vcc, s62, v31
	v_mov_b32_e32 v3, 0x7f800001
	s_and_saveexec_b64 s[46:47], vcc
	s_cbranch_execz .LBB2_517
; %bb.516:                              ;   in Loop: Header=BB2_347 Depth=2
	v_and_b32_e32 v22, 7, v2
	v_ffbh_u32_e32 v3, v22
	v_min_u32_e32 v32, 32, v3
	v_subrev_u32_e32 v3, 28, v32
	v_lshlrev_b64 v[2:3], v3, v[2:3]
	v_lshrrev_b32_e32 v23, 3, v31
	v_sub_u32_e32 v3, 29, v32
	v_and_b32_e32 v2, 7, v2
	v_cmp_gt_u32_e32 vcc, 8, v31
	v_cndmask_b32_e32 v3, v23, v3, vcc
	v_cndmask_b32_e32 v2, v22, v2, vcc
	v_lshlrev_b32_e32 v22, 8, v40
	v_lshlrev_b32_e32 v2, 20, v2
	v_and_b32_e32 v22, 0x80000000, v22
	v_lshl_add_u32 v3, v3, 23, v46
	v_or3_b32 v3, v22, v3, v2
.LBB2_517:                              ;   in Loop: Header=BB2_347 Depth=2
	s_or_b64 exec, exec, s[46:47]
.LBB2_518:                              ;   in Loop: Header=BB2_347 Depth=2
	s_or_b64 exec, exec, s[44:45]
.LBB2_519:                              ;   in Loop: Header=BB2_347 Depth=2
	s_or_b64 exec, exec, s[16:17]
	v_mul_f32_e32 v32, v29, v3
	v_and_b32_sdwa v31, v32, s61 dst_sel:DWORD dst_unused:UNUSED_PAD src0_sel:BYTE_3 src1_sel:DWORD
	v_and_b32_e32 v48, 0x7f800000, v32
	v_mov_b32_e32 v49, v41
	v_and_b32_e32 v2, 0x7fffff, v32
	v_mov_b32_e32 v3, v41
	v_or_b32_e32 v29, 0x7e, v31
	v_cmp_ne_u64_e32 vcc, s[36:37], v[48:49]
	s_and_saveexec_b64 s[16:17], vcc
	s_xor_b64 s[44:45], exec, s[16:17]
	s_cbranch_execz .LBB2_529
; %bb.520:                              ;   in Loop: Header=BB2_347 Depth=2
	v_and_b32_e32 v48, 0x7fffffff, v32
	v_mov_b32_e32 v49, v41
	v_cmp_gt_u64_e32 vcc, s[38:39], v[48:49]
	s_and_saveexec_b64 s[46:47], vcc
	s_cbranch_execz .LBB2_528
; %bb.521:                              ;   in Loop: Header=BB2_347 Depth=2
	v_cmp_ne_u32_e32 vcc, 0, v32
	v_mov_b32_e32 v29, 0
	s_and_saveexec_b64 s[48:49], vcc
	s_cbranch_execz .LBB2_527
; %bb.522:                              ;   in Loop: Header=BB2_347 Depth=2
	v_bfe_u32 v22, v32, 23, 8
	v_sub_u32_e32 v29, 0x79, v22
	v_cmp_gt_u32_e32 vcc, s63, v22
	v_add_u32_e32 v23, 0xffffff81, v22
	v_cndmask_b32_e32 v29, 0, v29, vcc
	v_cmp_eq_u32_e32 vcc, 0, v22
	v_cndmask_b32_e32 v22, v23, v47, vcc
	v_cndmask_b32_e32 v23, v29, v30, vcc
	v_or_b32_e32 v32, 0x800000, v2
	v_add_u32_e32 v29, 20, v23
	v_cndmask_b32_e32 v2, v32, v2, vcc
	v_lshlrev_b64 v[32:33], v29, -1
	v_not_b32_e32 v29, v33
	v_not_b32_e32 v32, v32
	v_and_b32_e32 v49, 0, v29
	v_and_b32_e32 v48, v2, v32
	v_add_u32_e32 v29, 19, v23
	v_lshrrev_b64 v[2:3], v23, v[2:3]
	v_lshlrev_b64 v[54:55], v29, 1
	v_lshrrev_b32_e32 v29, 23, v2
	v_add3_u32 v33, v23, v22, v29
	v_bfe_u32 v22, v2, 20, 1
	v_add_u32_e32 v22, -1, v22
	v_cmp_eq_u64_e32 vcc, v[48:49], v[54:55]
	v_cndmask_b32_e32 v22, 0, v22, vcc
	v_add_u32_e32 v22, v22, v2
	v_and_b32_e32 v22, 0xfffff, v22
	v_add_co_u32_e32 v2, vcc, v22, v2
	v_add_u32_e32 v32, 6, v33
	v_addc_co_u32_e32 v3, vcc, 0, v3, vcc
	v_cmp_ne_u32_e32 vcc, 0, v32
                                        ; implicit-def: $vgpr29
	s_and_saveexec_b64 s[16:17], vcc
	s_xor_b64 s[16:17], exec, s[16:17]
; %bb.523:                              ;   in Loop: Header=BB2_347 Depth=2
	v_add_u32_e32 v22, 7, v33
	v_cmp_lt_u64_e32 vcc, s[40:41], v[2:3]
	v_cndmask_b32_e32 v29, v32, v22, vcc
	v_cndmask_b32_e64 v22, 0, 1, vcc
	v_lshrrev_b64 v[2:3], v22, v[2:3]
; %bb.524:                              ;   in Loop: Header=BB2_347 Depth=2
	s_andn2_saveexec_b64 s[16:17], s[16:17]
; %bb.525:                              ;   in Loop: Header=BB2_347 Depth=2
	v_bfe_u32 v29, v2, 23, 1
; %bb.526:                              ;   in Loop: Header=BB2_347 Depth=2
	s_or_b64 exec, exec, s[16:17]
	v_lshrrev_b64 v[2:3], 20, v[2:3]
	v_cmp_gt_i32_e32 vcc, 16, v29
	v_cndmask_b32_e32 v3, 0, v3, vcc
	v_cndmask_b32_e32 v2, 7, v2, vcc
	v_cmp_eq_u64_e64 s[16:17], 0, v[2:3]
	v_min_i32_e32 v3, 15, v29
	v_lshlrev_b32_e32 v3, 3, v3
	v_cmp_eq_u32_e32 vcc, 0, v29
	v_and_b32_e32 v3, 0xf8, v3
	v_and_or_b32 v2, v2, 7, v3
	s_and_b64 s[16:17], vcc, s[16:17]
	v_cndmask_b32_e64 v2, v2, 0, s[16:17]
	v_accvgpr_read_b32 v37, a9
	v_accvgpr_read_b32 v55, a41
	v_or_b32_e32 v29, v2, v31
	v_accvgpr_read_b32 v36, a8
	v_accvgpr_read_b32 v54, a40
.LBB2_527:                              ;   in Loop: Header=BB2_347 Depth=2
	s_or_b64 exec, exec, s[48:49]
.LBB2_528:                              ;   in Loop: Header=BB2_347 Depth=2
	s_or_b64 exec, exec, s[46:47]
                                        ; implicit-def: $vgpr32
                                        ; implicit-def: $vgpr2_vgpr3
.LBB2_529:                              ;   in Loop: Header=BB2_347 Depth=2
	s_andn2_saveexec_b64 s[16:17], s[44:45]
; %bb.530:                              ;   in Loop: Header=BB2_347 Depth=2
	v_or_b32_sdwa v22, v32, s62 dst_sel:DWORD dst_unused:UNUSED_PAD src0_sel:BYTE_3 src1_sel:DWORD
	v_cmp_eq_u64_e32 vcc, 0, v[2:3]
	v_cndmask_b32_e32 v29, v22, v29, vcc
; %bb.531:                              ;   in Loop: Header=BB2_347 Depth=2
	s_or_b64 exec, exec, s[16:17]
	v_and_b32_e32 v2, 0xff000000, v4
	v_mov_b32_e32 v3, v41
	v_cmp_ne_u64_e32 vcc, 0, v[2:3]
	v_mov_b32_e32 v3, 0
	v_mov_b32_e32 v31, 0
	s_and_saveexec_b64 s[16:17], vcc
	s_cbranch_execz .LBB2_537
; %bb.532:                              ;   in Loop: Header=BB2_347 Depth=2
	v_lshrrev_b32_e32 v2, 24, v4
	v_cmp_ne_u32_e32 vcc, s61, v2
	v_bfrev_b32_e32 v31, 1
	s_and_saveexec_b64 s[44:45], vcc
	s_cbranch_execz .LBB2_536
; %bb.533:                              ;   in Loop: Header=BB2_347 Depth=2
	v_bfe_u32 v4, v4, 24, 7
	v_cmp_ne_u32_e32 vcc, s62, v4
	v_mov_b32_e32 v31, 0x7f800001
	s_and_saveexec_b64 s[46:47], vcc
	s_cbranch_execz .LBB2_535
; %bb.534:                              ;   in Loop: Header=BB2_347 Depth=2
	v_and_b32_e32 v22, 7, v2
	v_ffbh_u32_e32 v31, v22
	v_min_u32_e32 v31, 32, v31
	v_subrev_u32_e32 v32, 28, v31
	v_lshlrev_b64 v[32:33], v32, v[2:3]
	v_lshrrev_b32_e32 v23, 3, v4
	v_sub_u32_e32 v31, 29, v31
	v_and_b32_e32 v32, 7, v32
	v_cmp_gt_u32_e32 vcc, 8, v4
	v_cndmask_b32_e32 v4, v23, v31, vcc
	v_cndmask_b32_e32 v22, v22, v32, vcc
	v_lshlrev_b32_e32 v2, 24, v2
	v_lshlrev_b32_e32 v22, 20, v22
	v_and_b32_e32 v2, 0x80000000, v2
	v_lshl_add_u32 v4, v4, 23, v46
	v_or3_b32 v31, v2, v4, v22
.LBB2_535:                              ;   in Loop: Header=BB2_347 Depth=2
	s_or_b64 exec, exec, s[46:47]
.LBB2_536:                              ;   in Loop: Header=BB2_347 Depth=2
	s_or_b64 exec, exec, s[44:45]
.LBB2_537:                              ;   in Loop: Header=BB2_347 Depth=2
	s_or_b64 exec, exec, s[16:17]
	v_cmp_lt_u32_e32 vcc, s64, v40
	s_and_saveexec_b64 s[16:17], vcc
	s_cbranch_execz .LBB2_543
; %bb.538:                              ;   in Loop: Header=BB2_347 Depth=2
	v_lshrrev_b32_e32 v2, 24, v40
	v_cmp_ne_u32_sdwa vcc, v40, s61 src0_sel:BYTE_3 src1_sel:DWORD
	v_bfrev_b32_e32 v3, 1
	s_and_saveexec_b64 s[44:45], vcc
	s_cbranch_execz .LBB2_542
; %bb.539:                              ;   in Loop: Header=BB2_347 Depth=2
	v_bfe_u32 v4, v40, 24, 7
	v_cmp_ne_u32_e32 vcc, s62, v4
	v_mov_b32_e32 v3, 0x7f800001
	s_and_saveexec_b64 s[46:47], vcc
	s_cbranch_execz .LBB2_541
; %bb.540:                              ;   in Loop: Header=BB2_347 Depth=2
	v_and_b32_e32 v22, 7, v2
	v_ffbh_u32_e32 v3, v22
	v_min_u32_e32 v32, 32, v3
	v_subrev_u32_e32 v3, 28, v32
	v_lshlrev_b64 v[2:3], v3, v[2:3]
	v_lshrrev_b32_e32 v23, 3, v4
	v_sub_u32_e32 v3, 29, v32
	v_and_b32_e32 v2, 7, v2
	v_cmp_gt_u32_e32 vcc, 8, v4
	v_cndmask_b32_e32 v3, v23, v3, vcc
	v_cndmask_b32_e32 v2, v22, v2, vcc
	v_lshlrev_b32_sdwa v4, v6, v40 dst_sel:DWORD dst_unused:UNUSED_PAD src0_sel:DWORD src1_sel:BYTE_3
	v_lshlrev_b32_e32 v2, 20, v2
	v_and_b32_e32 v4, 0x80000000, v4
	v_lshl_add_u32 v3, v3, 23, v46
	v_or3_b32 v3, v4, v3, v2
.LBB2_541:                              ;   in Loop: Header=BB2_347 Depth=2
	s_or_b64 exec, exec, s[46:47]
.LBB2_542:                              ;   in Loop: Header=BB2_347 Depth=2
	s_or_b64 exec, exec, s[44:45]
.LBB2_543:                              ;   in Loop: Header=BB2_347 Depth=2
	s_or_b64 exec, exec, s[16:17]
	v_mul_f32_e32 v3, v31, v3
	v_and_b32_sdwa v4, v3, s61 dst_sel:DWORD dst_unused:UNUSED_PAD src0_sel:BYTE_3 src1_sel:DWORD
	v_and_b32_e32 v32, 0x7f800000, v3
	v_mov_b32_e32 v33, v41
	v_and_b32_e32 v40, 0x7fffff, v3
	v_or_b32_e32 v2, 0x7e, v4
	v_cmp_ne_u64_e32 vcc, s[36:37], v[32:33]
	s_and_saveexec_b64 s[16:17], vcc
	s_xor_b64 s[44:45], exec, s[16:17]
	s_cbranch_execz .LBB2_553
; %bb.544:                              ;   in Loop: Header=BB2_347 Depth=2
	v_and_b32_e32 v32, 0x7fffffff, v3
	v_mov_b32_e32 v33, v41
	v_cmp_gt_u64_e32 vcc, s[38:39], v[32:33]
	s_and_saveexec_b64 s[46:47], vcc
	s_cbranch_execz .LBB2_552
; %bb.545:                              ;   in Loop: Header=BB2_347 Depth=2
	v_cmp_ne_u32_e32 vcc, 0, v3
	v_mov_b32_e32 v2, 0
	s_and_saveexec_b64 s[48:49], vcc
	s_cbranch_execz .LBB2_551
; %bb.546:                              ;   in Loop: Header=BB2_347 Depth=2
	v_bfe_u32 v2, v3, 23, 8
	v_sub_u32_e32 v22, 0x79, v2
	v_cmp_gt_u32_e32 vcc, s63, v2
	v_cndmask_b32_e32 v22, 0, v22, vcc
	v_cmp_eq_u32_e32 vcc, 0, v2
	v_or_b32_e32 v23, 0x800000, v40
	v_cndmask_b32_e32 v22, v22, v30, vcc
	v_add_u32_e32 v3, 0xffffff81, v2
	v_cndmask_b32_e32 v40, v23, v40, vcc
	v_add_u32_e32 v2, 20, v22
	v_cndmask_b32_e32 v31, v3, v47, vcc
	v_lshlrev_b64 v[2:3], v2, -1
	v_add_u32_e32 v23, 19, v22
	v_lshrrev_b64 v[54:55], v22, v[40:41]
	v_not_b32_e32 v3, v3
	v_not_b32_e32 v2, v2
	v_lshlrev_b64 v[48:49], v23, 1
	v_lshrrev_b32_e32 v23, 23, v54
	v_and_b32_e32 v3, 0, v3
	v_and_b32_e32 v2, v40, v2
	v_add3_u32 v33, v22, v31, v23
	v_bfe_u32 v22, v54, 20, 1
	v_add_u32_e32 v22, -1, v22
	v_cmp_eq_u64_e32 vcc, v[2:3], v[48:49]
	v_cndmask_b32_e32 v2, 0, v22, vcc
	v_add_u32_e32 v2, v2, v54
	v_and_b32_e32 v2, 0xfffff, v2
	v_add_co_u32_e32 v2, vcc, v2, v54
	v_add_u32_e32 v32, 6, v33
	v_addc_co_u32_e32 v3, vcc, 0, v55, vcc
	v_cmp_ne_u32_e32 vcc, 0, v32
                                        ; implicit-def: $vgpr31
	s_and_saveexec_b64 s[16:17], vcc
	s_xor_b64 s[16:17], exec, s[16:17]
; %bb.547:                              ;   in Loop: Header=BB2_347 Depth=2
	v_add_u32_e32 v22, 7, v33
	v_cmp_lt_u64_e32 vcc, s[40:41], v[2:3]
	v_cndmask_b32_e32 v31, v32, v22, vcc
	v_cndmask_b32_e64 v22, 0, 1, vcc
	v_lshrrev_b64 v[2:3], v22, v[2:3]
; %bb.548:                              ;   in Loop: Header=BB2_347 Depth=2
	s_andn2_saveexec_b64 s[16:17], s[16:17]
; %bb.549:                              ;   in Loop: Header=BB2_347 Depth=2
	v_bfe_u32 v31, v2, 23, 1
; %bb.550:                              ;   in Loop: Header=BB2_347 Depth=2
	s_or_b64 exec, exec, s[16:17]
	v_lshrrev_b64 v[2:3], 20, v[2:3]
	v_cmp_gt_i32_e32 vcc, 16, v31
	v_cndmask_b32_e32 v3, 0, v3, vcc
	v_cndmask_b32_e32 v2, 7, v2, vcc
	v_cmp_eq_u64_e64 s[16:17], 0, v[2:3]
	v_min_i32_e32 v3, 15, v31
	v_lshlrev_b32_e32 v3, 3, v3
	v_cmp_eq_u32_e32 vcc, 0, v31
	v_and_b32_e32 v3, 0xf8, v3
	v_and_or_b32 v2, v2, 7, v3
	s_and_b64 s[16:17], vcc, s[16:17]
	v_cndmask_b32_e64 v2, v2, 0, s[16:17]
	v_accvgpr_read_b32 v37, a9
	v_accvgpr_read_b32 v55, a41
	v_or_b32_e32 v2, v2, v4
	v_accvgpr_read_b32 v36, a8
	v_accvgpr_read_b32 v54, a40
.LBB2_551:                              ;   in Loop: Header=BB2_347 Depth=2
	s_or_b64 exec, exec, s[48:49]
.LBB2_552:                              ;   in Loop: Header=BB2_347 Depth=2
	s_or_b64 exec, exec, s[46:47]
                                        ; implicit-def: $vgpr3
.LBB2_553:                              ;   in Loop: Header=BB2_347 Depth=2
	s_andn2_saveexec_b64 s[16:17], s[44:45]
; %bb.554:                              ;   in Loop: Header=BB2_347 Depth=2
	v_or_b32_sdwa v3, v3, s62 dst_sel:DWORD dst_unused:UNUSED_PAD src0_sel:BYTE_3 src1_sel:DWORD
	v_cmp_eq_u64_e32 vcc, 0, v[40:41]
	v_cndmask_b32_e32 v2, v3, v2, vcc
; %bb.555:                              ;   in Loop: Header=BB2_347 Depth=2
	s_or_b64 exec, exec, s[16:17]
	v_lshlrev_b32_e32 v3, 8, v11
	v_lshlrev_b32_e32 v2, 24, v2
	;; [unrolled: 1-line block ×3, first 2 shown]
	v_perm_b32 v3, v3, v5, s65
	v_cmp_lt_u32_e32 vcc, 7, v21
	v_or3_b32 v3, v2, v3, v4
	v_cndmask_b32_e64 v2, 0, 1, vcc
	;;#ASMSTART
	;;#ASMEND
	v_cmp_ne_u32_e64 s[16:17], 0, v2
	s_cmp_lg_u64 s[16:17], exec
	s_mov_b64 s[16:17], -1
	s_cbranch_scc0 .LBB2_565
; %bb.556:                              ;   in Loop: Header=BB2_347 Depth=2
	v_cmp_ne_u32_e64 s[16:17], 1, v21
	flat_store_byte v[0:1], v8
	s_and_saveexec_b64 s[44:45], s[16:17]
	s_cbranch_execnz .LBB2_567
; %bb.557:                              ;   in Loop: Header=BB2_347 Depth=2
	s_or_b64 exec, exec, s[44:45]
	v_cmp_lt_u32_e64 s[16:17], 2, v21
	s_and_saveexec_b64 s[44:45], s[16:17]
	s_cbranch_execnz .LBB2_568
.LBB2_558:                              ;   in Loop: Header=BB2_347 Depth=2
	s_or_b64 exec, exec, s[44:45]
	v_cmp_lt_u32_e64 s[16:17], 3, v21
	s_and_saveexec_b64 s[44:45], s[16:17]
	s_cbranch_execnz .LBB2_569
.LBB2_559:                              ;   in Loop: Header=BB2_347 Depth=2
	s_or_b64 exec, exec, s[44:45]
	v_cmp_lt_u32_e64 s[16:17], 4, v21
	s_and_saveexec_b64 s[44:45], s[16:17]
	s_cbranch_execnz .LBB2_570
.LBB2_560:                              ;   in Loop: Header=BB2_347 Depth=2
	s_or_b64 exec, exec, s[44:45]
	v_cmp_lt_u32_e64 s[16:17], 5, v21
	s_and_saveexec_b64 s[44:45], s[16:17]
	s_cbranch_execnz .LBB2_571
.LBB2_561:                              ;   in Loop: Header=BB2_347 Depth=2
	s_or_b64 exec, exec, s[44:45]
	v_cmp_lt_u32_e64 s[16:17], 6, v21
	s_and_saveexec_b64 s[44:45], s[16:17]
	s_cbranch_execnz .LBB2_572
.LBB2_562:                              ;   in Loop: Header=BB2_347 Depth=2
	s_or_b64 exec, exec, s[44:45]
	s_and_saveexec_b64 s[16:17], vcc
	s_cbranch_execz .LBB2_564
.LBB2_563:                              ;   in Loop: Header=BB2_347 Depth=2
	v_lshrrev_b32_e32 v2, 24, v3
	flat_store_byte v[0:1], v2 offset:7
.LBB2_564:                              ;   in Loop: Header=BB2_347 Depth=2
	s_or_b64 exec, exec, s[16:17]
	s_mov_b64 s[16:17], 0
.LBB2_565:                              ;   in Loop: Header=BB2_347 Depth=2
	s_and_b64 vcc, exec, s[16:17]
	s_cbranch_vccz .LBB2_346
; %bb.566:                              ;   in Loop: Header=BB2_347 Depth=2
	v_perm_b32 v4, v10, v27, s66
	v_lshlrev_b32_e32 v2, 8, v9
	v_perm_b32 v4, v4, v8, s67
	v_and_or_b32 v2, v2, s68, v4
	global_store_dwordx2 v[0:1], v[2:3], off
	s_branch .LBB2_346
.LBB2_567:                              ;   in Loop: Header=BB2_347 Depth=2
	flat_store_byte v[0:1], v9 offset:1
	s_or_b64 exec, exec, s[44:45]
	v_cmp_lt_u32_e64 s[16:17], 2, v21
	s_and_saveexec_b64 s[44:45], s[16:17]
	s_cbranch_execz .LBB2_558
.LBB2_568:                              ;   in Loop: Header=BB2_347 Depth=2
	flat_store_byte v[0:1], v27 offset:2
	s_or_b64 exec, exec, s[44:45]
	v_cmp_lt_u32_e64 s[16:17], 3, v21
	s_and_saveexec_b64 s[44:45], s[16:17]
	s_cbranch_execz .LBB2_559
.LBB2_569:                              ;   in Loop: Header=BB2_347 Depth=2
	flat_store_byte v[0:1], v10 offset:3
	s_or_b64 exec, exec, s[44:45]
	v_cmp_lt_u32_e64 s[16:17], 4, v21
	s_and_saveexec_b64 s[44:45], s[16:17]
	s_cbranch_execz .LBB2_560
.LBB2_570:                              ;   in Loop: Header=BB2_347 Depth=2
	flat_store_byte v[0:1], v5 offset:4
	s_or_b64 exec, exec, s[44:45]
	v_cmp_lt_u32_e64 s[16:17], 5, v21
	s_and_saveexec_b64 s[44:45], s[16:17]
	s_cbranch_execz .LBB2_561
.LBB2_571:                              ;   in Loop: Header=BB2_347 Depth=2
	flat_store_byte v[0:1], v11 offset:5
	s_or_b64 exec, exec, s[44:45]
	v_cmp_lt_u32_e64 s[16:17], 6, v21
	s_and_saveexec_b64 s[44:45], s[16:17]
	s_cbranch_execz .LBB2_562
.LBB2_572:                              ;   in Loop: Header=BB2_347 Depth=2
	flat_store_byte v[0:1], v29 offset:6
	s_or_b64 exec, exec, s[44:45]
	s_and_saveexec_b64 s[16:17], vcc
	s_cbranch_execnz .LBB2_563
	s_branch .LBB2_564
.LBB2_573:                              ;   in Loop: Header=BB2_21 Depth=1
	s_or_b64 exec, exec, s[42:43]
	v_accvgpr_read_b32 v29, a36
.LBB2_574:                              ;   in Loop: Header=BB2_21 Depth=1
	s_or_b64 exec, exec, s[18:19]
	v_accvgpr_read_b32 v25, a3
	v_accvgpr_read_b32 v24, a2
	s_and_saveexec_b64 s[16:17], s[10:11]
	s_cbranch_execz .LBB2_593
; %bb.575:                              ;   in Loop: Header=BB2_21 Depth=1
	s_and_saveexec_b64 s[18:19], s[28:29]
	s_xor_b64 s[18:19], exec, s[18:19]
	s_cbranch_execz .LBB2_590
; %bb.576:                              ;   in Loop: Header=BB2_21 Depth=1
	s_and_saveexec_b64 s[42:43], s[12:13]
	s_cbranch_execz .LBB2_589
; %bb.577:                              ;   in Loop: Header=BB2_21 Depth=1
	s_mov_b64 s[46:47], exec
	v_mbcnt_lo_u32_b32 v0, s46, 0
	v_mbcnt_hi_u32_b32 v0, s47, v0
	v_cmp_eq_u32_e32 vcc, 0, v0
	s_waitcnt vmcnt(0) lgkmcnt(0)
	buffer_wbinvl1_vol
	s_and_saveexec_b64 s[44:45], vcc
	s_cbranch_execz .LBB2_579
; %bb.578:                              ;   in Loop: Header=BB2_21 Depth=1
	s_bcnt1_i32_b64 vcc_lo, s[46:47]
	v_mov_b32_e32 v40, vcc_lo
	ds_add_u64 v0, v[40:41]
	s_trap 2
.LBB2_579:                              ;   in Loop: Header=BB2_21 Depth=1
	s_or_b64 exec, exec, s[44:45]
	s_trap 2
	ds_read_b64 v[0:1], v0
	v_accvgpr_read_b32 v2, a26
	v_add_co_u32_e32 v42, vcc, v42, v2
	v_accvgpr_read_b32 v3, a27
	v_addc_co_u32_e32 v43, vcc, v43, v3, vcc
	s_waitcnt lgkmcnt(0)
	v_cmp_lt_u64_e32 vcc, v[0:1], v[42:43]
	s_and_saveexec_b64 s[44:45], vcc
	s_cbranch_execz .LBB2_588
; %bb.580:                              ;   in Loop: Header=BB2_21 Depth=1
	s_mov_b32 s56, 0
	s_mov_b64 s[46:47], 0
                                        ; implicit-def: $sgpr48_sgpr49
                                        ; implicit-def: $sgpr50_sgpr51
	s_branch .LBB2_582
.LBB2_581:                              ;   in Loop: Header=BB2_582 Depth=2
	s_or_b64 exec, exec, s[54:55]
	s_and_b64 vcc, exec, vcc
	s_or_b64 s[46:47], vcc, s[46:47]
	s_andn2_b64 vcc, s[48:49], exec
	s_and_b64 s[48:49], s[50:51], exec
	s_or_b64 s[48:49], vcc, s[48:49]
	s_andn2_b64 exec, exec, s[46:47]
	s_cbranch_execz .LBB2_586
.LBB2_582:                              ;   Parent Loop BB2_21 Depth=1
                                        ; =>  This Inner Loop Header: Depth=2
	s_add_i32 s56, s56, 1
	s_cmpk_lg_i32 s56, 0x2710
	s_cselect_b64 s[52:53], -1, 0
	s_and_b64 vcc, exec, s[52:53]
                                        ; implicit-def: $sgpr54_sgpr55
	s_cbranch_vccnz .LBB2_584
; %bb.583:                              ;   in Loop: Header=BB2_582 Depth=2
	s_trap 2
	ds_read_b64 v[0:1], v0
	s_andn2_b64 s[52:53], s[52:53], exec
	s_mov_b32 s56, 0
	s_mov_b64 s[54:55], -1
	s_waitcnt lgkmcnt(0)
	flat_load_dword v0, v[0:1] glc
	s_waitcnt vmcnt(0) lgkmcnt(0)
	buffer_invl2
	buffer_wbinvl1_vol
	v_cmp_eq_u32_e32 vcc, 0, v0
	s_and_b64 vcc, vcc, exec
	s_or_b64 s[52:53], s[52:53], vcc
.LBB2_584:                              ;   in Loop: Header=BB2_582 Depth=2
	s_andn2_b64 s[50:51], s[50:51], exec
	s_and_b64 s[54:55], s[54:55], exec
	s_mov_b64 vcc, -1
	s_or_b64 s[50:51], s[50:51], s[54:55]
	s_and_saveexec_b64 s[54:55], s[52:53]
	s_cbranch_execz .LBB2_581
; %bb.585:                              ;   in Loop: Header=BB2_582 Depth=2
	s_sleep 1
	s_trap 2
	ds_read_b64 v[0:1], v0
	s_andn2_b64 s[50:51], s[50:51], exec
	s_waitcnt lgkmcnt(0)
	v_cmp_ge_u64_e32 vcc, v[0:1], v[42:43]
	s_orn2_b64 vcc, vcc, exec
	s_branch .LBB2_581
.LBB2_586:                              ;   in Loop: Header=BB2_21 Depth=1
	s_or_b64 exec, exec, s[46:47]
	s_and_saveexec_b64 vcc, s[48:49]
	s_xor_b64 vcc, exec, vcc
	s_cbranch_execz .LBB2_588
; %bb.587:                              ;   in Loop: Header=BB2_21 Depth=1
	v_mov_b32_e32 v0, 1
	ds_write_b32 v0, v0
	s_trap 2
.LBB2_588:                              ;   in Loop: Header=BB2_21 Depth=1
	s_or_b64 exec, exec, s[44:45]
	;;#ASMSTART
	s_wakeup
	;;#ASMEND
.LBB2_589:                              ;   in Loop: Header=BB2_21 Depth=1
	s_or_b64 exec, exec, s[42:43]
.LBB2_590:                              ;   in Loop: Header=BB2_21 Depth=1
	s_andn2_saveexec_b64 s[18:19], s[18:19]
	s_cbranch_execz .LBB2_592
; %bb.591:                              ;   in Loop: Header=BB2_21 Depth=1
	s_waitcnt vmcnt(0) lgkmcnt(0)
	buffer_wbinvl1_vol
	s_barrier
.LBB2_592:                              ;   in Loop: Header=BB2_21 Depth=1
	s_or_b64 exec, exec, s[18:19]
.LBB2_593:                              ;   in Loop: Header=BB2_21 Depth=1
	s_or_b64 exec, exec, s[16:17]
	s_and_saveexec_b64 s[16:17], s[14:15]
	s_cbranch_execz .LBB2_20
; %bb.594:                              ;   in Loop: Header=BB2_21 Depth=1
	v_add_co_u32_e32 v38, vcc, 1, v38
	v_accvgpr_read_b32 v0, a20
	v_addc_co_u32_e32 v39, vcc, 0, v39, vcc
	v_accvgpr_read_b32 v1, a21
	flat_store_dwordx2 v[0:1], v[38:39]
	s_branch .LBB2_20
.LBB2_595:
	s_or_b64 exec, exec, s[26:27]
	v_accvgpr_read_b32 v19, a13
	v_accvgpr_read_b32 v27, a15
	;; [unrolled: 1-line block ×6, first 2 shown]
.LBB2_596:
	s_or_b64 exec, exec, s[24:25]
; %bb.597:
	s_and_saveexec_b64 s[6:7], s[22:23]
	s_cbranch_execnz .LBB2_600
; %bb.598:
	s_or_b64 exec, exec, s[6:7]
	s_and_saveexec_b64 s[6:7], s[4:5]
	s_cbranch_execnz .LBB2_601
.LBB2_599:
	s_or_b64 exec, exec, s[6:7]
	v_cmp_ne_u32_e32 vcc, 64, v20
	s_and_saveexec_b64 s[4:5], vcc
	s_cbranch_execnz .LBB2_602
	s_branch .LBB2_619
.LBB2_600:
	s_waitcnt vmcnt(0) lgkmcnt(0)
	flat_store_dwordx2 v[26:27], v[38:39] offset:104
	s_or_b64 exec, exec, s[6:7]
	s_and_saveexec_b64 s[6:7], s[4:5]
	s_cbranch_execz .LBB2_599
.LBB2_601:
	s_waitcnt vmcnt(0) lgkmcnt(0)
	flat_store_dwordx2 v[18:19], v[14:15] offset:104
	s_or_b64 exec, exec, s[6:7]
	v_cmp_ne_u32_e32 vcc, 64, v20
	s_and_saveexec_b64 s[4:5], vcc
	s_cbranch_execz .LBB2_619
.LBB2_602:
	v_cmp_ne_u32_sdwa s[6:7], v9, v20 src0_sel:WORD_0 src1_sel:DWORD
	s_and_saveexec_b64 s[8:9], s[6:7]
	s_xor_b64 s[6:7], exec, s[8:9]
	s_cbranch_execz .LBB2_617
; %bb.603:
	v_and_b32_e32 v0, 63, v31
	v_cmp_eq_u32_e32 vcc, 0, v0
	s_and_saveexec_b64 s[8:9], vcc
	s_cbranch_execz .LBB2_616
; %bb.604:
	s_mov_b64 s[12:13], exec
	v_mbcnt_lo_u32_b32 v0, s12, 0
	v_mbcnt_hi_u32_b32 v0, s13, v0
	v_cmp_eq_u32_e32 vcc, 0, v0
	s_waitcnt vmcnt(0) lgkmcnt(0)
	buffer_wbinvl1_vol
	s_and_saveexec_b64 s[10:11], vcc
	s_cbranch_execz .LBB2_606
; %bb.605:
	s_bcnt1_i32_b64 s12, s[12:13]
	v_mov_b32_e32 v0, s12
	v_mov_b32_e32 v1, 0
	ds_add_u64 v0, v[0:1]
	s_trap 2
.LBB2_606:
	s_or_b64 exec, exec, s[10:11]
	v_ashrrev_i32_e32 v0, 31, v20
	v_lshrrev_b32_e32 v0, 26, v0
	v_add_u32_e32 v0, v20, v0
	v_ashrrev_i32_e32 v0, 6, v0
	s_trap 2
	ds_read_b64 v[2:3], v0
	v_ashrrev_i32_e32 v1, 31, v0
	v_add_co_u32_e32 v0, vcc, v42, v0
	v_addc_co_u32_e32 v1, vcc, v43, v1, vcc
	s_waitcnt lgkmcnt(0)
	v_cmp_lt_u64_e32 vcc, v[2:3], v[0:1]
	s_and_saveexec_b64 s[10:11], vcc
	s_cbranch_execz .LBB2_615
; %bb.607:
	s_mov_b32 s24, 0
	s_mov_b64 s[12:13], 0
                                        ; implicit-def: $sgpr14_sgpr15
                                        ; implicit-def: $sgpr16_sgpr17
	s_branch .LBB2_609
.LBB2_608:                              ;   in Loop: Header=BB2_609 Depth=1
	s_or_b64 exec, exec, s[22:23]
	s_and_b64 s[18:19], exec, s[20:21]
	s_or_b64 s[12:13], s[18:19], s[12:13]
	s_andn2_b64 s[14:15], s[14:15], exec
	s_and_b64 s[18:19], s[16:17], exec
	s_or_b64 s[14:15], s[14:15], s[18:19]
	s_andn2_b64 exec, exec, s[12:13]
	s_cbranch_execz .LBB2_613
.LBB2_609:                              ; =>This Inner Loop Header: Depth=1
	s_add_i32 s24, s24, 1
	s_cmpk_lg_i32 s24, 0x2710
	s_cselect_b64 s[18:19], -1, 0
	s_and_b64 vcc, exec, s[18:19]
                                        ; implicit-def: $sgpr22_sgpr23
	s_cbranch_vccnz .LBB2_611
; %bb.610:                              ;   in Loop: Header=BB2_609 Depth=1
	s_trap 2
	ds_read_b64 v[2:3], v0
	s_andn2_b64 s[18:19], s[18:19], exec
	s_mov_b32 s24, 0
	s_mov_b64 s[22:23], -1
	s_waitcnt lgkmcnt(0)
	flat_load_dword v2, v[2:3] glc
	s_waitcnt vmcnt(0) lgkmcnt(0)
	buffer_invl2
	buffer_wbinvl1_vol
	v_cmp_eq_u32_e32 vcc, 0, v2
	s_and_b64 s[20:21], vcc, exec
	s_or_b64 s[18:19], s[18:19], s[20:21]
.LBB2_611:                              ;   in Loop: Header=BB2_609 Depth=1
	s_andn2_b64 s[16:17], s[16:17], exec
	s_and_b64 s[22:23], s[22:23], exec
	s_mov_b64 s[20:21], -1
	s_or_b64 s[16:17], s[16:17], s[22:23]
	s_and_saveexec_b64 s[22:23], s[18:19]
	s_cbranch_execz .LBB2_608
; %bb.612:                              ;   in Loop: Header=BB2_609 Depth=1
	s_sleep 1
	s_trap 2
	ds_read_b64 v[2:3], v0
	s_andn2_b64 s[16:17], s[16:17], exec
	s_waitcnt lgkmcnt(0)
	v_cmp_ge_u64_e32 vcc, v[2:3], v[0:1]
	s_orn2_b64 s[20:21], vcc, exec
	s_branch .LBB2_608
.LBB2_613:
	s_or_b64 exec, exec, s[12:13]
	s_and_saveexec_b64 s[12:13], s[14:15]
	s_xor_b64 s[12:13], exec, s[12:13]
	s_cbranch_execz .LBB2_615
; %bb.614:
	v_mov_b32_e32 v0, 1
	ds_write_b32 v0, v0
	s_trap 2
.LBB2_615:
	s_or_b64 exec, exec, s[10:11]
	;;#ASMSTART
	s_wakeup
	;;#ASMEND
.LBB2_616:
	s_or_b64 exec, exec, s[8:9]
.LBB2_617:
	s_andn2_saveexec_b64 s[6:7], s[6:7]
	s_cbranch_execz .LBB2_619
; %bb.618:
	s_waitcnt vmcnt(0) lgkmcnt(0)
	buffer_wbinvl1_vol
	s_barrier
.LBB2_619:
	s_or_b64 exec, exec, s[4:5]
	buffer_load_dword a45, off, s[0:3], s32 ; 4-byte Folded Reload
	buffer_load_dword a44, off, s[0:3], s32 offset:4 ; 4-byte Folded Reload
	buffer_load_dword a43, off, s[0:3], s32 offset:8 ; 4-byte Folded Reload
	;; [unrolled: 1-line block ×28, first 2 shown]
	v_readlane_b32 s30, v63, 37
	v_readlane_b32 s31, v63, 38
	;; [unrolled: 1-line block ×39, first 2 shown]
	s_or_saveexec_b64 s[4:5], -1
	buffer_load_dword v63, off, s[0:3], s32 offset:116 ; 4-byte Folded Reload
	s_mov_b64 exec, s[4:5]
	s_waitcnt vmcnt(0) lgkmcnt(0)
	s_setpc_b64 s[30:31]
.Lfunc_end2:
	.size	_ZN12_GLOBAL__N_17runRingI14__hip_fp8_e4m38FuncProdIS1_E7ProtoLLLi0ELi2ELi0EEEviiP15ncclDevWorkColl, .Lfunc_end2-_ZN12_GLOBAL__N_17runRingI14__hip_fp8_e4m38FuncProdIS1_E7ProtoLLLi0ELi2ELi0EEEviiP15ncclDevWorkColl
                                        ; -- End function
	.section	.AMDGPU.csdata,"",@progbits
; Function info:
; codeLenInByte = 20972
; NumSgprs: 75
; NumVgprs: 64
; NumAgprs: 46
; TotalNumVgprs: 110
; ScratchSize: 124
; MemoryBound: 0
	.text
	.p2align	2                               ; -- Begin function _Z51ncclDevFunc_ReduceScatter_RING_LL_Prod_f8e4m3_0_0_2v
	.type	_Z51ncclDevFunc_ReduceScatter_RING_LL_Prod_f8e4m3_0_0_2v,@function
_Z51ncclDevFunc_ReduceScatter_RING_LL_Prod_f8e4m3_0_0_2v: ; @_Z51ncclDevFunc_ReduceScatter_RING_LL_Prod_f8e4m3_0_0_2v
; %bb.0:
	s_waitcnt vmcnt(0) expcnt(0) lgkmcnt(0)
	s_mov_b32 s4, s33
	s_mov_b32 s33, s32
	s_or_saveexec_b64 s[6:7], -1
	buffer_store_dword v43, off, s[0:3], s33 offset:16 ; 4-byte Folded Spill
	s_mov_b64 exec, s[6:7]
	v_writelane_b32 v43, s4, 47
	s_addk_i32 s32, 0x800
	buffer_store_dword v40, off, s[0:3], s33 offset:12 ; 4-byte Folded Spill
	buffer_store_dword v41, off, s[0:3], s33 offset:8 ; 4-byte Folded Spill
	buffer_store_dword v42, off, s[0:3], s33 offset:4 ; 4-byte Folded Spill
	buffer_store_dword v63, off, s[0:3], s33 ; 4-byte Folded Spill
	v_writelane_b32 v43, s34, 0
	v_writelane_b32 v43, s35, 1
	;; [unrolled: 1-line block ×47, first 2 shown]
	s_trap 2
	ds_read_b32 v0, v0
	v_mov_b32_e32 v40, v31
	s_mov_b32 s71, s12
	s_mov_b64 s[72:73], s[8:9]
	s_waitcnt lgkmcnt(0)
	v_cmp_gt_i32_e32 vcc, 1, v0
	s_cbranch_vccnz .LBB3_8
; %bb.1:
	s_mov_b32 s78, 0
	v_and_b32_e32 v41, 0x3ff, v40
	s_mov_b64 s[74:75], src_shared_base
	v_mov_b32_e32 v42, 6
	s_branch .LBB3_3
.LBB3_2:                                ;   in Loop: Header=BB3_3 Depth=1
	s_or_b64 exec, exec, s[76:77]
	s_trap 2
	ds_read_b32 v0, v0
	s_add_i32 s78, s78, 1
	s_waitcnt lgkmcnt(0)
	v_cmp_lt_i32_e32 vcc, s78, v0
	s_cbranch_vccz .LBB3_8
.LBB3_3:                                ; =>This Inner Loop Header: Depth=1
	s_trap 2
	ds_read_b32 v0, v0
	s_cmp_eq_u32 s78, 0
	s_cbranch_scc1 .LBB3_6
; %bb.4:                                ;   in Loop: Header=BB3_3 Depth=1
	s_trap 2
	s_waitcnt lgkmcnt(0)
	ds_read_b32 v1, v0
	s_waitcnt lgkmcnt(0)
	v_xor_b32_e32 v1, v1, v0
	v_and_b32_e32 v1, 0xff0000, v1
	v_cmp_eq_u32_e32 vcc, 0, v1
	s_cbranch_vccnz .LBB3_6
; %bb.5:                                ;   in Loop: Header=BB3_3 Depth=1
	s_barrier
	ds_read_b32 v0, v0
.LBB3_6:                                ;   in Loop: Header=BB3_3 Depth=1
	s_waitcnt lgkmcnt(0)
	v_lshlrev_b32_sdwa v1, v42, v0 dst_sel:DWORD dst_unused:UNUSED_PAD src0_sel:DWORD src1_sel:BYTE_2
	v_cmp_lt_u32_e32 vcc, v41, v1
	s_and_saveexec_b64 s[76:77], vcc
	s_cbranch_execz .LBB3_2
; %bb.7:                                ;   in Loop: Header=BB3_3 Depth=1
	s_mov_b64 s[8:9], s[72:73]
	s_mov_b32 s12, s71
	v_mov_b32_e32 v31, v40
	v_mov_b32_e32 v0, v41
	;; [unrolled: 1-line block ×3, first 2 shown]
	s_getpc_b64 s[4:5]
	s_add_u32 s4, s4, _ZN12_GLOBAL__N_17runRingI14__hip_fp8_e4m38FuncProdIS1_E7ProtoLLLi0ELi2ELi0EEEviiP15ncclDevWorkColl@rel32@lo+4
	s_addc_u32 s5, s5, _ZN12_GLOBAL__N_17runRingI14__hip_fp8_e4m38FuncProdIS1_E7ProtoLLLi0ELi2ELi0EEEviiP15ncclDevWorkColl@rel32@hi+12
	s_swappc_b64 s[30:31], s[4:5]
	s_branch .LBB3_2
.LBB3_8:
	buffer_load_dword v63, off, s[0:3], s33 ; 4-byte Folded Reload
	buffer_load_dword v42, off, s[0:3], s33 offset:4 ; 4-byte Folded Reload
	buffer_load_dword v41, off, s[0:3], s33 offset:8 ; 4-byte Folded Reload
	;; [unrolled: 1-line block ×3, first 2 shown]
	v_readlane_b32 s30, v43, 45
	v_readlane_b32 s31, v43, 46
	;; [unrolled: 1-line block ×48, first 2 shown]
	s_or_saveexec_b64 s[6:7], -1
	buffer_load_dword v43, off, s[0:3], s33 offset:16 ; 4-byte Folded Reload
	s_mov_b64 exec, s[6:7]
	s_addk_i32 s32, 0xf800
	s_mov_b32 s33, s4
	s_waitcnt vmcnt(0)
	s_setpc_b64 s[30:31]
.Lfunc_end3:
	.size	_Z51ncclDevFunc_ReduceScatter_RING_LL_Prod_f8e4m3_0_0_2v, .Lfunc_end3-_Z51ncclDevFunc_ReduceScatter_RING_LL_Prod_f8e4m3_0_0_2v
                                        ; -- End function
	.section	.AMDGPU.csdata,"",@progbits
; Function info:
; codeLenInByte = 1132
; NumSgprs: 83
; NumVgprs: 64
; NumAgprs: 46
; TotalNumVgprs: 110
; ScratchSize: 156
; MemoryBound: 0
	.text
	.p2align	2                               ; -- Begin function _ZN12_GLOBAL__N_17runRingI14__hip_fp8_e4m38FuncProdIS1_E7ProtoLLLi0ELi4ELi0EEEviiP15ncclDevWorkColl
	.type	_ZN12_GLOBAL__N_17runRingI14__hip_fp8_e4m38FuncProdIS1_E7ProtoLLLi0ELi4ELi0EEEviiP15ncclDevWorkColl,@function
_ZN12_GLOBAL__N_17runRingI14__hip_fp8_e4m38FuncProdIS1_E7ProtoLLLi0ELi4ELi0EEEviiP15ncclDevWorkColl: ; @_ZN12_GLOBAL__N_17runRingI14__hip_fp8_e4m38FuncProdIS1_E7ProtoLLLi0ELi4ELi0EEEviiP15ncclDevWorkColl
; %bb.0:
	s_waitcnt vmcnt(0) expcnt(0) lgkmcnt(0)
	s_or_saveexec_b64 s[4:5], -1
	buffer_store_dword v63, off, s[0:3], s32 offset:116 ; 4-byte Folded Spill
	s_mov_b64 exec, s[4:5]
	buffer_store_dword v40, off, s[0:3], s32 offset:112 ; 4-byte Folded Spill
	buffer_store_dword v41, off, s[0:3], s32 offset:108 ; 4-byte Folded Spill
	;; [unrolled: 1-line block ×28, first 2 shown]
	buffer_store_dword a45, off, s[0:3], s32 ; 4-byte Folded Spill
	v_writelane_b32 v63, s34, 0
	v_writelane_b32 v63, s35, 1
	;; [unrolled: 1-line block ×39, first 2 shown]
	v_mov_b32_e32 v20, v1
	v_mov_b32_e32 v44, v0
	s_trap 2
	flat_load_dword v7, v[2:3]
	flat_load_dwordx4 v[22:25], v[2:3] offset:72
	flat_load_dwordx2 v[0:1], v[2:3] offset:88
                                        ; implicit-def: $agpr6_agpr7
	s_waitcnt vmcnt(0) lgkmcnt(0)
	ds_read_b32 v5, v0
	ds_read_b64 a[4:5], v0
	v_not_b32_sdwa v6, v7 dst_sel:DWORD dst_unused:UNUSED_PAD src0_sel:BYTE_0
	v_add_u32_sdwa v4, v7, v6 dst_sel:DWORD dst_unused:UNUSED_PAD src0_sel:BYTE_1 src1_sel:DWORD
	v_ashrrev_i32_e32 v10, 31, v4
	v_mul_lo_u32 v11, v25, v4
	v_mad_u64_u32 v[8:9], s[4:5], v24, v4, 0
	v_mul_lo_u32 v4, v24, v10
	s_waitcnt lgkmcnt(1)
	v_readfirstlane_b32 s20, v5
	v_add3_u32 v4, v9, v4, v11
	v_cmp_ne_u32_sdwa s[4:5], v7, v5 src0_sel:BYTE_0 src1_sel:DWORD
                                        ; implicit-def: $vgpr10_vgpr11
	s_and_saveexec_b64 s[6:7], s[4:5]
	s_xor_b64 s[4:5], exec, s[6:7]
	s_cbranch_execz .LBB4_6
; %bb.1:
	v_cmp_ne_u32_sdwa s[6:7], v7, v5 src0_sel:BYTE_1 src1_sel:DWORD
                                        ; implicit-def: $vgpr10_vgpr11
                                        ; implicit-def: $agpr6_agpr7
	s_and_saveexec_b64 s[10:11], s[6:7]
	s_xor_b64 s[6:7], exec, s[10:11]
	s_cbranch_execz .LBB4_3
; %bb.2:
	flat_load_dwordx2 v[10:11], v[2:3] offset:96
	v_add_u32_e32 v5, v5, v6
	v_ashrrev_i32_e32 v6, 31, v5
	v_mul_lo_u32 v6, v24, v6
	v_mul_lo_u32 v7, v25, v5
	v_mad_u64_u32 v[12:13], s[10:11], v24, v5, v[22:23]
	v_add3_u32 v13, v7, v13, v6
	v_accvgpr_write_b32 a6, v12
	v_accvgpr_write_b32 a7, v13
	s_waitcnt vmcnt(0) lgkmcnt(0)
	v_lshrrev_b64 v[10:11], 17, v[10:11]
.LBB4_3:
	s_andn2_saveexec_b64 s[6:7], s[6:7]
	s_cbranch_execz .LBB4_5
; %bb.4:
	flat_load_dword v5, v[2:3] offset:100
	v_add_co_u32_e32 v6, vcc, v8, v22
	v_addc_co_u32_e32 v7, vcc, v4, v23, vcc
	v_accvgpr_write_b32 a6, v6
	v_accvgpr_write_b32 a7, v7
	v_pk_mov_b32 v[24:25], v[0:1], v[0:1] op_sel:[0,1]
	s_waitcnt vmcnt(0) lgkmcnt(0)
	v_lshrrev_b32_e32 v10, 6, v5
.LBB4_5:
	s_or_b64 exec, exec, s[6:7]
.LBB4_6:
	s_andn2_saveexec_b64 s[4:5], s[4:5]
	s_cbranch_execz .LBB4_8
; %bb.7:
	flat_load_dwordx2 v[6:7], v[2:3] offset:96
	v_pk_mov_b32 v[10:11], 0, 0
	v_accvgpr_write_b32 a6, v10
	v_accvgpr_write_b32 a7, v11
	v_pk_mov_b32 v[24:25], v[22:23], v[22:23] op_sel:[0,1]
	s_waitcnt vmcnt(0) lgkmcnt(0)
	v_lshlrev_b64 v[10:11], 4, v[6:7]
.LBB4_8:
	s_or_b64 exec, exec, s[4:5]
	flat_load_ushort v7, v[2:3] offset:8
	flat_load_dword v6, v[2:3] offset:4
	s_load_dword s4, s[8:9], 0x0
	flat_load_dwordx4 a[8:11], v[2:3] offset:16
	v_mov_b32_e32 v3, 0
	v_ashrrev_i32_e32 v45, 31, v44
	v_lshrrev_b32_e32 v2, 26, v45
	s_waitcnt lgkmcnt(0)
	s_cmp_lt_u32 s12, s4
	s_cselect_b32 s4, 12, 18
	s_add_u32 s4, s8, s4
	s_addc_u32 s5, s9, 0
	global_load_ushort v9, v3, s[4:5]
	v_add_u32_e32 v5, v44, v2
	s_trap 2
	ds_read_b32 v2, v0
	v_and_b32_e32 v5, 0xffffffc0, v5
	v_sub_u32_e32 v5, v44, v5
	s_mov_b32 s6, 0
	v_pk_mov_b32 v[18:19], 0, 0
	s_waitcnt lgkmcnt(0)
	v_cmp_gt_i32_e32 vcc, 0, v2
	v_readfirstlane_b32 s8, v2
	s_and_b64 vcc, exec, vcc
	v_cmp_eq_u32_e64 s[4:5], 0, v5
	s_waitcnt vmcnt(0)
	v_lshrrev_b64 v[6:7], 31, v[6:7]
	v_and_b32_e32 v6, 3, v6
	s_cbranch_vccnz .LBB4_10
; %bb.9:
	s_trap 2
	ds_read_b64 v[12:13], v0
	v_lshlrev_b64 v[2:3], 3, v[2:3]
	v_and_b32_e32 v7, 0xffff, v6
	s_movk_i32 s6, 0xa8
	s_waitcnt lgkmcnt(0)
	v_add_co_u32_e32 v2, vcc, v12, v2
	v_addc_co_u32_e32 v3, vcc, v13, v3, vcc
	flat_load_dwordx2 v[2:3], v[2:3]
	s_waitcnt vmcnt(0) lgkmcnt(0)
	v_mad_u64_u32 v[2:3], s[6:7], v7, s6, v[2:3]
	flat_load_dwordx2 a[16:17], v[2:3] offset:504
	flat_load_dwordx2 v[34:35], v[2:3] offset:608
	v_add_co_u32_e32 v2, vcc, 0x1f8, v2
	v_addc_co_u32_e32 v3, vcc, 0, v3, vcc
	v_cndmask_b32_e64 v27, 0, v3, s[4:5]
	v_cndmask_b32_e64 v26, 0, v2, s[4:5]
	s_mov_b32 s6, 1
	s_branch .LBB4_11
.LBB4_10:
	v_pk_mov_b32 v[26:27], v[18:19], v[18:19] op_sel:[0,1]
                                        ; implicit-def: $vgpr34_vgpr35
                                        ; implicit-def: $agpr16_agpr17
.LBB4_11:
	s_trap 2
	ds_read_b32 v2, v0
	s_waitcnt lgkmcnt(0)
	v_cmp_gt_i32_e32 vcc, 0, v2
	s_cbranch_vccnz .LBB4_13
; %bb.12:
	s_trap 2
	ds_read_b64 v[12:13], v0
	v_mov_b32_e32 v3, 0
	v_lshlrev_b64 v[2:3], 3, v[2:3]
	v_and_b32_e32 v6, 0xffff, v6
	s_movk_i32 s4, 0xa8
	s_waitcnt lgkmcnt(0)
	v_add_co_u32_e32 v2, vcc, v12, v2
	v_addc_co_u32_e32 v3, vcc, v13, v3, vcc
	flat_load_dwordx2 v[2:3], v[2:3]
	v_cmp_eq_u32_e32 vcc, 0, v5
	s_waitcnt vmcnt(0) lgkmcnt(0)
	v_mad_u64_u32 v[2:3], s[4:5], v6, s4, v[2:3]
	flat_load_dwordx2 a[18:19], v[2:3]
	flat_load_dwordx2 v[16:17], v[2:3] offset:104
	v_cndmask_b32_e32 v19, 0, v3, vcc
	v_cndmask_b32_e32 v18, 0, v2, vcc
	s_branch .LBB4_14
.LBB4_13:
                                        ; implicit-def: $vgpr16_vgpr17
                                        ; implicit-def: $agpr18_agpr19
.LBB4_14:
	v_subrev_u32_e32 v2, 64, v20
	v_pk_mov_b32 v[12:13], 0, 0
	v_cmp_le_i32_e32 vcc, v2, v44
	v_cmp_gt_i32_e64 s[4:5], s6, v5
	v_accvgpr_write_b32 a21, v13
	s_and_b64 s[22:23], vcc, s[4:5]
	v_accvgpr_write_b32 a20, v12
                                        ; implicit-def: $vgpr38_vgpr39
	s_and_saveexec_b64 s[4:5], s[22:23]
	s_cbranch_execz .LBB4_16
; %bb.15:
	flat_load_dwordx2 a[20:21], v[26:27] offset:56
	flat_load_dwordx2 v[38:39], v[26:27] offset:104
.LBB4_16:
	s_or_b64 exec, exec, s[4:5]
	v_cmp_gt_i32_e64 s[4:5], s6, v44
	v_pk_mov_b32 v[50:51], v[12:13], v[12:13] op_sel:[0,1]
                                        ; implicit-def: $vgpr52_vgpr53
	s_and_saveexec_b64 s[6:7], s[4:5]
	s_cbranch_execz .LBB4_18
; %bb.17:
	flat_load_dwordx2 v[50:51], v[18:19] offset:56
	s_waitcnt vmcnt(0) lgkmcnt(0)
	flat_load_dwordx2 v[52:53], v[50:51] glc
	s_waitcnt vmcnt(0)
	flat_load_dwordx4 v[12:15], v[18:19] offset:96
.LBB4_18:
	s_or_b64 exec, exec, s[6:7]
	v_cmp_ne_u64_e32 vcc, 0, v[24:25]
	v_pk_mov_b32 v[42:43], 0, 0
	s_and_saveexec_b64 s[24:25], vcc
	s_cbranch_execz .LBB4_596
; %bb.19:
	v_add_co_u32_e32 v0, vcc, v0, v22
	s_ashr_i32 s6, s8, 31
	v_addc_co_u32_e32 v1, vcc, v1, v23, vcc
	s_lshr_b32 s6, s6, 29
	v_add_co_u32_e32 v0, vcc, v0, v8
	s_ashr_i32 s21, s20, 31
	s_add_i32 s8, s8, s6
	v_accvgpr_write_b32 a22, v0
	v_addc_co_u32_e32 v0, vcc, v1, v4, vcc
	s_lshl_b64 s[6:7], s[20:21], 2
	v_accvgpr_read_b32 v2, a4
	v_accvgpr_write_b32 a23, v0
	v_mov_b32_e32 v0, s7
	v_accvgpr_read_b32 v3, a5
	v_add_co_u32_e32 v1, vcc, s6, v2
	v_addc_co_u32_e32 v0, vcc, v3, v0, vcc
	v_add_co_u32_e32 v2, vcc, -4, v1
	v_addc_co_u32_e32 v3, vcc, -1, v0, vcc
	v_and_b32_e32 v0, 63, v31
	v_ashrrev_i32_e32 v21, 31, v20
	v_cmp_eq_u32_e64 s[12:13], 0, v0
	v_lshrrev_b32_e32 v0, 26, v21
	v_add_u32_e32 v0, v20, v0
	v_ashrrev_i32_e32 v0, 6, v0
	v_accvgpr_write_b32 a25, v3
	v_ashrrev_i32_e32 v1, 31, v0
	v_accvgpr_write_b32 a24, v2
	v_accvgpr_write_b32 a26, v0
	;; [unrolled: 1-line block ×3, first 2 shown]
	v_accvgpr_read_b32 v0, a8
	v_lshlrev_b32_e32 v4, 3, v44
	v_accvgpr_read_b32 v2, a10
	v_ashrrev_i32_e32 v5, 31, v4
	v_accvgpr_read_b32 v3, a11
	v_add_co_u32_e32 v6, vcc, v2, v4
	v_addc_co_u32_e32 v7, vcc, v3, v5, vcc
	v_accvgpr_read_b32 v1, a9
	v_add_co_u32_e32 v0, vcc, v0, v4
	v_accvgpr_write_b32 a32, v0
	v_addc_co_u32_e32 v0, vcc, v1, v5, vcc
	v_accvgpr_write_b32 a33, v0
	v_accvgpr_read_b32 v0, a6
	v_accvgpr_read_b32 v1, a7
	v_add_co_u32_e32 v0, vcc, v6, v0
	s_waitcnt vmcnt(0) lgkmcnt(0)
	v_accvgpr_read_b32 v2, a20
	v_addc_co_u32_e32 v1, vcc, v7, v1, vcc
	v_accvgpr_read_b32 v3, a21
	v_accvgpr_write_b32 a35, v1
	s_ashr_i32 s10, s8, 3
	v_cmp_ne_u64_e64 s[14:15], 0, v[2:3]
	v_accvgpr_write_b32 a34, v0
	v_lshlrev_b64 v[0:1], 4, v[44:45]
	v_accvgpr_read_b32 v2, a18
	v_and_b32_e32 v36, 0x1fffff0, v10
	v_mov_b32_e32 v41, 0
	s_ashr_i32 s58, s8, 7
	s_and_b32 s21, s10, -16
	v_accvgpr_read_b32 v3, a19
	v_add_co_u32_e32 v0, vcc, v2, v0
	v_accvgpr_write_b32 a14, v26
	v_accvgpr_write_b32 a12, v18
	v_mov_b32_e32 v37, v41
	v_lshlrev_b32_e32 v56, 3, v20
	s_cmp_gt_i32 s20, 2
	v_accvgpr_write_b32 a37, v0
	v_addc_co_u32_e32 v0, vcc, v3, v1, vcc
	v_pk_mov_b32 v[54:55], 0, 0
	v_accvgpr_write_b32 a2, v24
	v_accvgpr_write_b32 a8, v36
	;; [unrolled: 1-line block ×4, first 2 shown]
	s_mov_b64 s[26:27], 0
	v_cmp_ne_u64_e64 s[6:7], 0, v[50:51]
	v_cmp_ne_u64_e64 s[8:9], 0, v[12:13]
	v_cmp_ne_u32_e64 s[10:11], 64, v20
	v_accvgpr_write_b32 a1, v9
	v_cmp_ne_u32_sdwa s[28:29], v9, v20 src0_sel:WORD_0 src1_sel:DWORD
	v_accvgpr_write_b32 a0, v31
	s_cselect_b64 s[30:31], -1, 0
	v_accvgpr_write_b32 a28, v4
	v_accvgpr_write_b32 a29, v5
	v_accvgpr_write_b32 a30, v6
	v_accvgpr_write_b32 a31, v7
	v_lshlrev_b32_e32 v29, 6, v20
	v_accvgpr_write_b32 a38, v0
	s_movk_i32 s59, 0x2710
	s_mov_b64 s[34:35], 0x7ffffff8
	s_movk_i32 s60, 0xff
	s_movk_i32 s61, 0x80
	;; [unrolled: 1-line block ×3, first 2 shown]
	s_mov_b64 s[36:37], 0x7f800000
	s_mov_b64 s[38:39], 0x43e00001
	s_movk_i32 s63, 0x7a
	s_mov_b64 s[40:41], 0xffffff
	s_mov_b32 s64, 0xffffff
	s_mov_b32 s65, 0xc0c0500
	;; [unrolled: 1-line block ×5, first 2 shown]
	v_bfrev_b32_e32 v46, 60
	v_mov_b32_e32 v47, 0xffffff82
	v_mov_b32_e32 v30, 0x78
	;; [unrolled: 1-line block ×4, first 2 shown]
	v_ashrrev_i32_e32 v45, 31, v56
	v_lshlrev_b64 v[58:59], 4, v[20:21]
	v_pk_mov_b32 v[42:43], v[54:55], v[54:55] op_sel:[0,1]
	v_accvgpr_write_b32 a3, v25
	v_accvgpr_write_b32 a9, v37
	s_branch .LBB4_21
.LBB4_20:                               ;   in Loop: Header=BB4_21 Depth=1
	s_or_b64 exec, exec, s[16:17]
	v_add_co_u32_e32 v34, vcc, 1, v34
	v_addc_co_u32_e32 v35, vcc, 0, v35, vcc
	v_add_co_u32_e32 v54, vcc, v54, v36
	v_addc_co_u32_e32 v55, vcc, 0, v55, vcc
	v_cmp_ge_u64_e32 vcc, v[54:55], v[24:25]
	v_accvgpr_read_b32 v0, a34
	s_or_b64 s[26:27], vcc, s[26:27]
	v_accvgpr_read_b32 v1, a35
	v_add_co_u32_e32 v0, vcc, v0, v36
	v_addc_co_u32_e32 v1, vcc, 0, v1, vcc
	v_accvgpr_write_b32 a35, v1
	v_accvgpr_write_b32 a34, v0
	s_andn2_b64 exec, exec, s[26:27]
	s_cbranch_execz .LBB4_595
.LBB4_21:                               ; =>This Loop Header: Depth=1
                                        ;     Child Loop BB4_28 Depth 2
                                        ;     Child Loop BB4_45 Depth 2
	;; [unrolled: 1-line block ×5, first 2 shown]
                                        ;       Child Loop BB4_85 Depth 3
                                        ;       Child Loop BB4_101 Depth 3
	;; [unrolled: 1-line block ×3, first 2 shown]
                                        ;         Child Loop BB4_122 Depth 4
                                        ;       Child Loop BB4_330 Depth 3
                                        ;       Child Loop BB4_78 Depth 3
                                        ;     Child Loop BB4_347 Depth 2
                                        ;       Child Loop BB4_355 Depth 3
                                        ;     Child Loop BB4_582 Depth 2
	v_accvgpr_read_b32 v0, a24
	v_accvgpr_read_b32 v1, a25
	s_waitcnt vmcnt(0) lgkmcnt(0)
	flat_load_dword v2, v[0:1]
	v_sub_co_u32_e32 v0, vcc, v24, v54
	v_subb_co_u32_e32 v1, vcc, v25, v55, vcc
	v_cmp_lt_u64_e32 vcc, v[36:37], v[0:1]
	v_cndmask_b32_e32 v3, v0, v36, vcc
	v_lshl_add_u32 v0, v3, 1, 14
	v_and_b32_e32 v0, 0x7fffff0, v0
	v_accvgpr_write_b32 a39, v0
	s_and_saveexec_b64 s[16:17], s[6:7]
	s_cbranch_execz .LBB4_37
; %bb.22:                               ;   in Loop: Header=BB4_21 Depth=1
	v_add_co_u32_e32 v0, vcc, 1, v14
	v_addc_co_u32_e32 v1, vcc, 0, v15, vcc
	v_add_co_u32_e32 v4, vcc, 8, v52
	v_addc_co_u32_e32 v5, vcc, 0, v53, vcc
	v_cmp_lt_u64_e32 vcc, v[4:5], v[0:1]
	s_and_saveexec_b64 s[18:19], vcc
	s_cbranch_execz .LBB4_34
; %bb.23:                               ;   in Loop: Header=BB4_21 Depth=1
	s_sleep 1
	flat_load_dwordx2 v[52:53], v[50:51] glc
	v_cmp_eq_u32_e32 vcc, 0, v7
	s_and_saveexec_b64 s[42:43], vcc
	s_cbranch_execz .LBB4_33
; %bb.24:                               ;   in Loop: Header=BB4_21 Depth=1
	v_cndmask_b32_e64 v4, 0, 1, vcc
	s_mov_b64 s[44:45], 0
                                        ; implicit-def: $sgpr46_sgpr47
	s_branch .LBB4_28
.LBB4_25:                               ;   in Loop: Header=BB4_28 Depth=2
	s_or_b64 exec, exec, s[54:55]
	s_orn2_b64 s[52:53], s[52:53], exec
.LBB4_26:                               ;   in Loop: Header=BB4_28 Depth=2
	s_or_b64 exec, exec, s[50:51]
	s_xor_b64 vcc, s[52:53], -1
	s_andn2_b64 s[46:47], s[46:47], exec
	s_and_b64 vcc, vcc, exec
	s_or_b64 s[46:47], s[46:47], vcc
.LBB4_27:                               ;   in Loop: Header=BB4_28 Depth=2
	s_or_b64 exec, exec, s[48:49]
	s_and_b64 vcc, exec, s[46:47]
	s_or_b64 s[44:45], vcc, s[44:45]
	s_andn2_b64 exec, exec, s[44:45]
	s_cbranch_execz .LBB4_32
.LBB4_28:                               ;   Parent Loop BB4_21 Depth=1
                                        ; =>  This Inner Loop Header: Depth=2
	s_waitcnt vmcnt(0) lgkmcnt(0)
	v_add_co_u32_e32 v8, vcc, 8, v52
	v_addc_co_u32_e32 v9, vcc, 0, v53, vcc
	v_cmp_lt_u64_e32 vcc, v[8:9], v[0:1]
	v_mov_b32_e32 v7, 0
	s_or_b64 s[46:47], s[46:47], exec
	s_and_saveexec_b64 s[48:49], vcc
	s_cbranch_execz .LBB4_27
; %bb.29:                               ;   in Loop: Header=BB4_28 Depth=2
	s_sleep 1
	flat_load_dwordx2 v[52:53], v[50:51] glc
	v_add_u32_e32 v4, 1, v4
	v_cmp_eq_u32_e32 vcc, s59, v4
	s_mov_b64 s[52:53], -1
	v_mov_b32_e32 v7, 0
	s_and_saveexec_b64 s[50:51], vcc
	s_cbranch_execz .LBB4_26
; %bb.30:                               ;   in Loop: Header=BB4_28 Depth=2
	s_trap 2
	ds_read_b64 v[4:5], v0
	v_mov_b32_e32 v7, 0
	s_waitcnt vmcnt(0) lgkmcnt(0)
	flat_load_dword v5, v[4:5] glc
	s_waitcnt vmcnt(0) lgkmcnt(0)
	buffer_invl2
	buffer_wbinvl1_vol
	v_mov_b32_e32 v4, 0
	v_cmp_ne_u32_e32 vcc, 0, v5
	s_and_saveexec_b64 s[54:55], vcc
	s_cbranch_execz .LBB4_25
; %bb.31:                               ;   in Loop: Header=BB4_28 Depth=2
	v_mov_b32_e32 v7, 1
	s_xor_b64 s[52:53], exec, -1
	ds_write_b32 v0, v5
	s_trap 2
	s_branch .LBB4_25
.LBB4_32:                               ;   in Loop: Header=BB4_21 Depth=1
	s_or_b64 exec, exec, s[44:45]
.LBB4_33:                               ;   in Loop: Header=BB4_21 Depth=1
	s_or_b64 exec, exec, s[42:43]
.LBB4_34:                               ;   in Loop: Header=BB4_21 Depth=1
	s_or_b64 exec, exec, s[18:19]
	s_and_saveexec_b64 s[18:19], s[8:9]
	s_cbranch_execz .LBB4_36
; %bb.35:                               ;   in Loop: Header=BB4_21 Depth=1
	v_and_b32_e32 v40, 0x7ffffff8, v14
	v_mov_b32_e32 v4, s21
	v_cmp_eq_u64_e32 vcc, s[34:35], v[40:41]
	v_accvgpr_read_b32 v5, a39
	v_cndmask_b32_e32 v4, v5, v4, vcc
	v_and_b32_e32 v8, 7, v14
	v_ashrrev_i32_e32 v5, 31, v4
	v_mad_u64_u32 v[8:9], vcc, v8, 24, v[12:13]
	flat_store_dwordx2 v[8:9], v[4:5] offset:8
	s_waitcnt vmcnt(0)
.LBB4_36:                               ;   in Loop: Header=BB4_21 Depth=1
	s_or_b64 exec, exec, s[18:19]
	v_pk_mov_b32 v[14:15], v[0:1], v[0:1] op_sel:[0,1]
.LBB4_37:                               ;   in Loop: Header=BB4_21 Depth=1
	s_or_b64 exec, exec, s[16:17]
	s_and_saveexec_b64 s[16:17], s[10:11]
	s_cbranch_execz .LBB4_56
; %bb.38:                               ;   in Loop: Header=BB4_21 Depth=1
	s_and_saveexec_b64 s[18:19], s[28:29]
	s_xor_b64 s[18:19], exec, s[18:19]
	s_cbranch_execz .LBB4_53
; %bb.39:                               ;   in Loop: Header=BB4_21 Depth=1
	s_and_saveexec_b64 s[42:43], s[12:13]
	s_cbranch_execz .LBB4_52
; %bb.40:                               ;   in Loop: Header=BB4_21 Depth=1
	s_mov_b64 s[46:47], exec
	v_mbcnt_lo_u32_b32 v0, s46, 0
	v_mbcnt_hi_u32_b32 v0, s47, v0
	v_cmp_eq_u32_e32 vcc, 0, v0
	s_waitcnt vmcnt(0) lgkmcnt(0)
	buffer_wbinvl1_vol
	s_and_saveexec_b64 s[44:45], vcc
	s_cbranch_execz .LBB4_42
; %bb.41:                               ;   in Loop: Header=BB4_21 Depth=1
	s_bcnt1_i32_b64 vcc_lo, s[46:47]
	v_mov_b32_e32 v40, vcc_lo
	ds_add_u64 v0, v[40:41]
	s_trap 2
.LBB4_42:                               ;   in Loop: Header=BB4_21 Depth=1
	s_or_b64 exec, exec, s[44:45]
	s_trap 2
	ds_read_b64 v[0:1], v0
	v_accvgpr_read_b32 v4, a26
	v_add_co_u32_e32 v42, vcc, v42, v4
	v_accvgpr_read_b32 v5, a27
	v_addc_co_u32_e32 v43, vcc, v43, v5, vcc
	s_waitcnt lgkmcnt(0)
	v_cmp_lt_u64_e32 vcc, v[0:1], v[42:43]
	s_and_saveexec_b64 s[44:45], vcc
	s_cbranch_execz .LBB4_51
; %bb.43:                               ;   in Loop: Header=BB4_21 Depth=1
	s_mov_b32 s56, 0
	s_mov_b64 s[46:47], 0
                                        ; implicit-def: $sgpr48_sgpr49
                                        ; implicit-def: $sgpr50_sgpr51
	s_branch .LBB4_45
.LBB4_44:                               ;   in Loop: Header=BB4_45 Depth=2
	s_or_b64 exec, exec, s[54:55]
	s_and_b64 vcc, exec, vcc
	s_or_b64 s[46:47], vcc, s[46:47]
	s_andn2_b64 vcc, s[48:49], exec
	s_and_b64 s[48:49], s[50:51], exec
	s_or_b64 s[48:49], vcc, s[48:49]
	s_andn2_b64 exec, exec, s[46:47]
	s_cbranch_execz .LBB4_49
.LBB4_45:                               ;   Parent Loop BB4_21 Depth=1
                                        ; =>  This Inner Loop Header: Depth=2
	s_add_i32 s56, s56, 1
	s_cmpk_lg_i32 s56, 0x2710
	s_cselect_b64 s[52:53], -1, 0
	s_and_b64 vcc, exec, s[52:53]
                                        ; implicit-def: $sgpr54_sgpr55
	s_cbranch_vccnz .LBB4_47
; %bb.46:                               ;   in Loop: Header=BB4_45 Depth=2
	s_trap 2
	ds_read_b64 v[0:1], v0
	s_andn2_b64 s[52:53], s[52:53], exec
	s_mov_b32 s56, 0
	s_mov_b64 s[54:55], -1
	s_waitcnt lgkmcnt(0)
	flat_load_dword v0, v[0:1] glc
	s_waitcnt vmcnt(0) lgkmcnt(0)
	buffer_invl2
	buffer_wbinvl1_vol
	v_cmp_eq_u32_e32 vcc, 0, v0
	s_and_b64 vcc, vcc, exec
	s_or_b64 s[52:53], s[52:53], vcc
.LBB4_47:                               ;   in Loop: Header=BB4_45 Depth=2
	s_andn2_b64 s[50:51], s[50:51], exec
	s_and_b64 s[54:55], s[54:55], exec
	s_mov_b64 vcc, -1
	s_or_b64 s[50:51], s[50:51], s[54:55]
	s_and_saveexec_b64 s[54:55], s[52:53]
	s_cbranch_execz .LBB4_44
; %bb.48:                               ;   in Loop: Header=BB4_45 Depth=2
	s_sleep 1
	s_trap 2
	ds_read_b64 v[0:1], v0
	s_andn2_b64 s[50:51], s[50:51], exec
	s_waitcnt lgkmcnt(0)
	v_cmp_ge_u64_e32 vcc, v[0:1], v[42:43]
	s_orn2_b64 vcc, vcc, exec
	s_branch .LBB4_44
.LBB4_49:                               ;   in Loop: Header=BB4_21 Depth=1
	s_or_b64 exec, exec, s[46:47]
	s_and_saveexec_b64 vcc, s[48:49]
	s_xor_b64 vcc, exec, vcc
	s_cbranch_execz .LBB4_51
; %bb.50:                               ;   in Loop: Header=BB4_21 Depth=1
	v_mov_b32_e32 v0, 1
	ds_write_b32 v0, v0
	s_trap 2
.LBB4_51:                               ;   in Loop: Header=BB4_21 Depth=1
	s_or_b64 exec, exec, s[44:45]
	;;#ASMSTART
	s_wakeup
	;;#ASMEND
.LBB4_52:                               ;   in Loop: Header=BB4_21 Depth=1
	s_or_b64 exec, exec, s[42:43]
.LBB4_53:                               ;   in Loop: Header=BB4_21 Depth=1
	s_andn2_saveexec_b64 s[18:19], s[18:19]
	s_cbranch_execz .LBB4_55
; %bb.54:                               ;   in Loop: Header=BB4_21 Depth=1
	s_waitcnt vmcnt(0) lgkmcnt(0)
	buffer_wbinvl1_vol
	s_barrier
.LBB4_55:                               ;   in Loop: Header=BB4_21 Depth=1
	s_or_b64 exec, exec, s[18:19]
.LBB4_56:                               ;   in Loop: Header=BB4_21 Depth=1
	s_or_b64 exec, exec, s[16:17]
	v_accvgpr_read_b32 v0, a28
	v_sub_u32_e32 v21, v3, v0
	v_cmp_lt_i32_e64 s[16:17], 0, v21
	v_and_b32_e32 v1, 7, v16
	v_mov_b32_e32 v0, v44
	s_and_saveexec_b64 s[18:19], s[16:17]
	s_cbranch_execz .LBB4_64
; %bb.57:                               ;   in Loop: Header=BB4_21 Depth=1
	v_accvgpr_read_b32 v22, a34
	s_waitcnt vmcnt(0) lgkmcnt(0)
	v_ashrrev_i32_e32 v0, 31, v2
	v_mov_b32_e32 v3, v16
	v_add_co_u32_e64 v8, vcc, 0, 0
	v_accvgpr_read_b32 v18, a22
	v_accvgpr_read_b32 v23, a35
	;; [unrolled: 1-line block ×3, first 2 shown]
	v_mul_lo_u32 v4, v1, s58
	v_addc_co_u32_e32 v3, vcc, 1, v3, vcc
	v_mad_u64_u32 v[10:11], vcc, v18, v2, v[22:23]
	v_mul_lo_u32 v9, v9, v2
	v_mul_lo_u32 v0, v18, v0
	v_ashrrev_i32_e32 v5, 31, v4
	v_add3_u32 v11, v9, v11, v0
	v_mul_lo_u32 v0, v18, v2
	v_add_lshl_u32 v9, v22, v0, 3
	v_lshlrev_b64 v[4:5], 4, v[4:5]
	v_accvgpr_read_b32 v0, a37
	v_add_co_u32_e32 v18, vcc, v0, v4
	v_accvgpr_read_b32 v0, a38
	v_addc_co_u32_e32 v19, vcc, v0, v5, vcc
	s_mov_b64 s[42:43], 0
	v_mov_b32_e32 v26, v21
	v_mov_b32_e32 v0, v44
	s_branch .LBB4_59
.LBB4_58:                               ;   in Loop: Header=BB4_59 Depth=2
	s_or_b64 exec, exec, s[44:45]
	v_add_co_u32_e32 v10, vcc, v10, v56
	s_waitcnt vmcnt(0)
	v_alignbit_b32 v2, v28, v2, v9
	v_alignbit_b32 v4, v27, v28, v9
	v_sub_u32_e32 v26, v26, v56
	v_addc_co_u32_e32 v11, vcc, v11, v45, vcc
	v_or_b32_e32 v2, v8, v2
	v_or_b32_e32 v4, v8, v4
	v_mov_b32_e32 v5, v3
	v_cmp_gt_i32_e32 vcc, 1, v26
	global_store_dwordx4 v[18:19], v[2:5], off
	s_or_b64 s[42:43], vcc, s[42:43]
	v_add_co_u32_e32 v18, vcc, v18, v58
	v_add_u32_e32 v0, v0, v20
	v_add_u32_e32 v9, v9, v29
	v_addc_co_u32_e32 v19, vcc, v19, v59, vcc
	s_andn2_b64 exec, exec, s[42:43]
	s_cbranch_execz .LBB4_63
.LBB4_59:                               ;   Parent Loop BB4_21 Depth=1
                                        ; =>  This Inner Loop Header: Depth=2
	v_and_b32_e32 v4, -4, v10
	v_mov_b32_e32 v5, v11
	global_load_dword v2, v[4:5], off glc slc
	v_min_u32_e32 v22, 8, v26
	v_and_b32_e32 v23, 3, v10
	v_add_co_u32_e32 v24, vcc, v23, v22
	v_addc_co_u32_e64 v25, vcc, 0, 0, vcc
	v_mov_b32_e32 v27, 0
	v_cmp_lt_u64_e32 vcc, 4, v[24:25]
	v_mov_b32_e32 v28, 0
	s_and_saveexec_b64 s[44:45], vcc
	s_cbranch_execz .LBB4_61
; %bb.60:                               ;   in Loop: Header=BB4_59 Depth=2
	global_load_dword v28, v[4:5], off offset:4 glc slc
.LBB4_61:                               ;   in Loop: Header=BB4_59 Depth=2
	s_or_b64 exec, exec, s[44:45]
	v_cmp_lt_u64_e32 vcc, 8, v[24:25]
	s_and_saveexec_b64 s[44:45], vcc
	s_cbranch_execz .LBB4_58
; %bb.62:                               ;   in Loop: Header=BB4_59 Depth=2
	global_load_dword v27, v[4:5], off offset:8 glc slc
	s_branch .LBB4_58
.LBB4_63:                               ;   in Loop: Header=BB4_21 Depth=1
	s_or_b64 exec, exec, s[42:43]
.LBB4_64:                               ;   in Loop: Header=BB4_21 Depth=1
	s_or_b64 exec, exec, s[18:19]
	v_and_b32_e32 v40, 0x7ffffff8, v16
	v_cmp_eq_u64_e32 vcc, s[34:35], v[40:41]
	v_cmp_gt_i32_e64 s[18:19], s58, v0
	s_and_b64 s[18:19], vcc, s[18:19]
	s_and_saveexec_b64 s[42:43], s[18:19]
	s_cbranch_execz .LBB4_67
; %bb.65:                               ;   in Loop: Header=BB4_21 Depth=1
	v_mul_lo_u32 v4, v1, s58
	v_mov_b32_e32 v1, v16
	s_waitcnt vmcnt(0) lgkmcnt(0)
	v_add_co_u32_e64 v2, vcc, 0, 0
	v_ashrrev_i32_e32 v5, 31, v4
	v_addc_co_u32_e32 v3, vcc, 1, v1, vcc
	v_ashrrev_i32_e32 v1, 31, v0
	v_lshlrev_b64 v[8:9], 4, v[0:1]
	v_lshlrev_b64 v[4:5], 4, v[4:5]
	v_add_co_u32_e32 v1, vcc, v8, v4
	v_addc_co_u32_e32 v4, vcc, v9, v5, vcc
	v_accvgpr_read_b32 v8, a18
	v_accvgpr_read_b32 v9, a19
	v_add_co_u32_e32 v10, vcc, v8, v1
	v_addc_co_u32_e32 v11, vcc, v9, v4, vcc
	s_mov_b64 s[44:45], 0
.LBB4_66:                               ;   Parent Loop BB4_21 Depth=1
                                        ; =>  This Inner Loop Header: Depth=2
	v_mov_b32_e32 v4, v2
	v_mov_b32_e32 v5, v3
	v_add_u32_e32 v0, v0, v20
	global_store_dwordx4 v[10:11], v[2:5], off
	v_cmp_le_i32_e32 vcc, s58, v0
	v_add_co_u32_e64 v10, s[18:19], v10, v58
	s_or_b64 s[44:45], vcc, s[44:45]
	v_addc_co_u32_e64 v11, vcc, v11, v59, s[18:19]
	s_andn2_b64 exec, exec, s[44:45]
	s_cbranch_execnz .LBB4_66
.LBB4_67:                               ;   in Loop: Header=BB4_21 Depth=1
	s_or_b64 exec, exec, s[42:43]
	v_accvgpr_read_b32 v0, a6
	v_accvgpr_read_b32 v1, a7
	s_waitcnt vmcnt(0) lgkmcnt(0)
	v_add_co_u32_e32 v2, vcc, v54, v0
	v_addc_co_u32_e32 v1, vcc, v55, v1, vcc
	v_add_co_u32_e64 v28, s[18:19], 1, v16
	v_accvgpr_write_b32 a40, v54
	v_accvgpr_write_b32 a36, v29
	s_andn2_b64 vcc, exec, s[30:31]
	v_addc_co_u32_e64 v29, s[18:19], 0, v17, s[18:19]
	v_accvgpr_write_b32 a41, v55
	s_cbranch_vccnz .LBB4_341
; %bb.68:                               ;   in Loop: Header=BB4_21 Depth=1
	v_accvgpr_read_b32 v0, a30
	v_accvgpr_write_b32 a42, v2
	v_add_co_u32_e32 v2, vcc, v0, v2
	v_accvgpr_read_b32 v0, a31
	v_addc_co_u32_e32 v3, vcc, v0, v1, vcc
	v_accvgpr_write_b32 a45, v3
	v_accvgpr_write_b32 a43, v1
	v_accvgpr_write_b32 a44, v2
	v_add_u16_e32 v54, 1, v16
	s_mov_b32 s69, 2
	s_branch .LBB4_70
.LBB4_69:                               ;   in Loop: Header=BB4_70 Depth=2
	s_or_b64 exec, exec, s[42:43]
	v_add_co_u32_e32 v34, vcc, 1, v34
	v_addc_co_u32_e32 v35, vcc, 0, v35, vcc
	s_add_i32 s69, s69, 1
	v_add_co_u32_e32 v28, vcc, 1, v28
	v_addc_co_u32_e32 v29, vcc, 0, v29, vcc
	s_cmp_eq_u32 s69, s20
	v_add_u16_e32 v54, 1, v54
	s_cbranch_scc1 .LBB4_342
.LBB4_70:                               ;   Parent Loop BB4_21 Depth=1
                                        ; =>  This Loop Header: Depth=2
                                        ;       Child Loop BB4_85 Depth 3
                                        ;       Child Loop BB4_101 Depth 3
	;; [unrolled: 1-line block ×3, first 2 shown]
                                        ;         Child Loop BB4_122 Depth 4
                                        ;       Child Loop BB4_330 Depth 3
                                        ;       Child Loop BB4_78 Depth 3
	s_sub_i32 s18, s20, s69
	s_ashr_i32 s19, s18, 31
	s_lshl_b64 s[18:19], s[18:19], 2
	s_waitcnt vmcnt(0) lgkmcnt(0)
	v_accvgpr_read_b32 v2, a4
	v_mov_b32_e32 v1, s19
	v_accvgpr_read_b32 v3, a5
	v_add_co_u32_e32 v0, vcc, s18, v2
	v_addc_co_u32_e32 v1, vcc, v3, v1, vcc
	flat_load_dword v2, v[0:1]
	s_and_saveexec_b64 s[18:19], s[6:7]
	s_cbranch_execnz .LBB4_79
; %bb.71:                               ;   in Loop: Header=BB4_70 Depth=2
	s_or_b64 exec, exec, s[18:19]
	s_and_saveexec_b64 s[18:19], s[10:11]
	s_cbranch_execnz .LBB4_94
.LBB4_72:                               ;   in Loop: Header=BB4_70 Depth=2
	s_or_b64 exec, exec, s[18:19]
	v_mov_b32_e32 v0, v44
	s_and_saveexec_b64 s[42:43], s[16:17]
	s_cbranch_execnz .LBB4_112
.LBB4_73:                               ;   in Loop: Header=BB4_70 Depth=2
	s_or_b64 exec, exec, s[42:43]
	s_and_saveexec_b64 s[18:19], s[10:11]
	s_cbranch_execnz .LBB4_323
.LBB4_74:                               ;   in Loop: Header=BB4_70 Depth=2
	s_or_b64 exec, exec, s[18:19]
	s_and_saveexec_b64 s[18:19], s[14:15]
	s_cbranch_execz .LBB4_76
.LBB4_75:                               ;   in Loop: Header=BB4_70 Depth=2
	v_add_co_u32_e32 v38, vcc, 1, v38
	s_waitcnt vmcnt(0) lgkmcnt(0)
	v_accvgpr_read_b32 v2, a20
	v_addc_co_u32_e32 v39, vcc, 0, v39, vcc
	v_accvgpr_read_b32 v3, a21
	flat_store_dwordx2 v[2:3], v[38:39]
.LBB4_76:                               ;   in Loop: Header=BB4_70 Depth=2
	s_or_b64 exec, exec, s[18:19]
	v_and_b32_e32 v40, 0x7ffffff8, v28
	v_cmp_eq_u64_e32 vcc, s[34:35], v[40:41]
	v_cmp_gt_i32_e64 s[18:19], s58, v0
	s_and_b64 s[18:19], vcc, s[18:19]
	s_and_saveexec_b64 s[42:43], s[18:19]
	s_cbranch_execz .LBB4_69
; %bb.77:                               ;   in Loop: Header=BB4_70 Depth=2
	v_and_b32_e32 v1, 7, v54
	s_waitcnt vmcnt(0) lgkmcnt(0)
	v_mul_lo_u32 v2, s58, v1
	v_ashrrev_i32_e32 v3, 31, v2
	v_lshlrev_b64 v[4:5], 4, v[2:3]
	v_mov_b32_e32 v1, v28
	v_add_co_u32_e64 v2, vcc, 0, 0
	v_addc_co_u32_e32 v3, vcc, 1, v1, vcc
	v_ashrrev_i32_e32 v1, 31, v0
	v_lshlrev_b64 v[8:9], 4, v[0:1]
	v_add_co_u32_e32 v1, vcc, v8, v4
	v_addc_co_u32_e32 v4, vcc, v9, v5, vcc
	v_accvgpr_read_b32 v8, a18
	v_accvgpr_read_b32 v9, a19
	v_add_co_u32_e32 v10, vcc, v8, v1
	v_addc_co_u32_e32 v11, vcc, v9, v4, vcc
	s_mov_b64 s[44:45], 0
.LBB4_78:                               ;   Parent Loop BB4_21 Depth=1
                                        ;     Parent Loop BB4_70 Depth=2
                                        ; =>    This Inner Loop Header: Depth=3
	v_mov_b32_e32 v4, v2
	v_mov_b32_e32 v5, v3
	v_add_u32_e32 v0, v0, v20
	global_store_dwordx4 v[10:11], v[2:5], off
	v_cmp_le_i32_e32 vcc, s58, v0
	v_add_co_u32_e64 v10, s[18:19], v10, v58
	s_or_b64 s[44:45], vcc, s[44:45]
	v_addc_co_u32_e64 v11, vcc, v11, v59, s[18:19]
	s_andn2_b64 exec, exec, s[44:45]
	s_cbranch_execnz .LBB4_78
	s_branch .LBB4_69
.LBB4_79:                               ;   in Loop: Header=BB4_70 Depth=2
	v_add_co_u32_e32 v0, vcc, 1, v14
	v_addc_co_u32_e32 v1, vcc, 0, v15, vcc
	v_add_co_u32_e32 v4, vcc, 8, v52
	v_addc_co_u32_e32 v5, vcc, 0, v53, vcc
	v_cmp_lt_u64_e32 vcc, v[4:5], v[0:1]
	s_and_saveexec_b64 s[42:43], vcc
	s_cbranch_execz .LBB4_91
; %bb.80:                               ;   in Loop: Header=BB4_70 Depth=2
	s_sleep 1
	flat_load_dwordx2 v[52:53], v[50:51] glc
	v_cmp_eq_u32_e32 vcc, 0, v7
	s_and_saveexec_b64 s[44:45], vcc
	s_cbranch_execz .LBB4_90
; %bb.81:                               ;   in Loop: Header=BB4_70 Depth=2
	v_cndmask_b32_e64 v3, 0, 1, vcc
	s_mov_b64 s[46:47], 0
                                        ; implicit-def: $sgpr48_sgpr49
	s_branch .LBB4_85
.LBB4_82:                               ;   in Loop: Header=BB4_85 Depth=3
	s_or_b64 exec, exec, s[56:57]
	s_orn2_b64 s[54:55], s[54:55], exec
.LBB4_83:                               ;   in Loop: Header=BB4_85 Depth=3
	s_or_b64 exec, exec, s[52:53]
	s_xor_b64 vcc, s[54:55], -1
	s_andn2_b64 s[48:49], s[48:49], exec
	s_and_b64 vcc, vcc, exec
	s_or_b64 s[48:49], s[48:49], vcc
.LBB4_84:                               ;   in Loop: Header=BB4_85 Depth=3
	s_or_b64 exec, exec, s[50:51]
	s_and_b64 vcc, exec, s[48:49]
	s_or_b64 s[46:47], vcc, s[46:47]
	s_andn2_b64 exec, exec, s[46:47]
	s_cbranch_execz .LBB4_89
.LBB4_85:                               ;   Parent Loop BB4_21 Depth=1
                                        ;     Parent Loop BB4_70 Depth=2
                                        ; =>    This Inner Loop Header: Depth=3
	s_waitcnt vmcnt(0) lgkmcnt(0)
	v_add_co_u32_e32 v4, vcc, 8, v52
	v_addc_co_u32_e32 v5, vcc, 0, v53, vcc
	v_cmp_lt_u64_e32 vcc, v[4:5], v[0:1]
	v_mov_b32_e32 v7, 0
	s_or_b64 s[48:49], s[48:49], exec
	s_and_saveexec_b64 s[50:51], vcc
	s_cbranch_execz .LBB4_84
; %bb.86:                               ;   in Loop: Header=BB4_85 Depth=3
	s_sleep 1
	flat_load_dwordx2 v[52:53], v[50:51] glc
	v_add_u32_e32 v3, 1, v3
	v_cmp_eq_u32_e32 vcc, s59, v3
	s_mov_b64 s[54:55], -1
	v_mov_b32_e32 v7, 0
	s_and_saveexec_b64 s[52:53], vcc
	s_cbranch_execz .LBB4_83
; %bb.87:                               ;   in Loop: Header=BB4_85 Depth=3
	s_trap 2
	ds_read_b64 v[4:5], v0
	v_mov_b32_e32 v3, 0
	v_mov_b32_e32 v7, 0
	s_waitcnt vmcnt(0) lgkmcnt(0)
	flat_load_dword v4, v[4:5] glc
	s_waitcnt vmcnt(0) lgkmcnt(0)
	buffer_invl2
	buffer_wbinvl1_vol
	v_cmp_ne_u32_e32 vcc, 0, v4
	s_and_saveexec_b64 s[56:57], vcc
	s_cbranch_execz .LBB4_82
; %bb.88:                               ;   in Loop: Header=BB4_85 Depth=3
	v_mov_b32_e32 v7, 1
	s_xor_b64 s[54:55], exec, -1
	ds_write_b32 v0, v4
	s_trap 2
	s_branch .LBB4_82
.LBB4_89:                               ;   in Loop: Header=BB4_70 Depth=2
	s_or_b64 exec, exec, s[46:47]
.LBB4_90:                               ;   in Loop: Header=BB4_70 Depth=2
	s_or_b64 exec, exec, s[44:45]
.LBB4_91:                               ;   in Loop: Header=BB4_70 Depth=2
	s_or_b64 exec, exec, s[42:43]
	s_and_saveexec_b64 s[42:43], s[8:9]
	s_cbranch_execz .LBB4_93
; %bb.92:                               ;   in Loop: Header=BB4_70 Depth=2
	v_and_b32_e32 v40, 0x7ffffff8, v14
	v_mov_b32_e32 v3, s21
	v_cmp_eq_u64_e32 vcc, s[34:35], v[40:41]
	v_accvgpr_read_b32 v4, a39
	v_cndmask_b32_e32 v4, v4, v3, vcc
	v_and_b32_e32 v3, 7, v14
	v_ashrrev_i32_e32 v5, 31, v4
	v_mad_u64_u32 v[8:9], vcc, v3, 24, v[12:13]
	flat_store_dwordx2 v[8:9], v[4:5] offset:8
	s_waitcnt vmcnt(0)
.LBB4_93:                               ;   in Loop: Header=BB4_70 Depth=2
	s_or_b64 exec, exec, s[42:43]
	v_pk_mov_b32 v[14:15], v[0:1], v[0:1] op_sel:[0,1]
	s_or_b64 exec, exec, s[18:19]
	s_and_saveexec_b64 s[18:19], s[10:11]
	s_cbranch_execz .LBB4_72
.LBB4_94:                               ;   in Loop: Header=BB4_70 Depth=2
	s_and_saveexec_b64 vcc, s[28:29]
	s_xor_b64 s[42:43], exec, vcc
	s_cbranch_execz .LBB4_109
; %bb.95:                               ;   in Loop: Header=BB4_70 Depth=2
	s_and_saveexec_b64 s[44:45], s[12:13]
	s_cbranch_execz .LBB4_108
; %bb.96:                               ;   in Loop: Header=BB4_70 Depth=2
	s_mov_b64 s[48:49], exec
	v_mbcnt_lo_u32_b32 v0, s48, 0
	v_mbcnt_hi_u32_b32 v0, s49, v0
	v_cmp_eq_u32_e32 vcc, 0, v0
	s_waitcnt vmcnt(0) lgkmcnt(0)
	buffer_wbinvl1_vol
	s_and_saveexec_b64 s[46:47], vcc
	s_cbranch_execz .LBB4_98
; %bb.97:                               ;   in Loop: Header=BB4_70 Depth=2
	s_bcnt1_i32_b64 vcc_lo, s[48:49]
	v_mov_b32_e32 v40, vcc_lo
	ds_add_u64 v0, v[40:41]
	s_trap 2
.LBB4_98:                               ;   in Loop: Header=BB4_70 Depth=2
	s_or_b64 exec, exec, s[46:47]
	s_trap 2
	ds_read_b64 v[0:1], v0
	v_accvgpr_read_b32 v4, a26
	v_add_co_u32_e32 v42, vcc, v42, v4
	v_accvgpr_read_b32 v3, a27
	v_addc_co_u32_e32 v43, vcc, v43, v3, vcc
	s_waitcnt lgkmcnt(0)
	v_cmp_lt_u64_e32 vcc, v[0:1], v[42:43]
	s_and_saveexec_b64 s[46:47], vcc
	s_cbranch_execz .LBB4_107
; %bb.99:                               ;   in Loop: Header=BB4_70 Depth=2
	s_mov_b32 s70, 0
	s_mov_b64 s[48:49], 0
                                        ; implicit-def: $sgpr50_sgpr51
                                        ; implicit-def: $sgpr52_sgpr53
	s_branch .LBB4_101
.LBB4_100:                              ;   in Loop: Header=BB4_101 Depth=3
	s_or_b64 exec, exec, s[56:57]
	s_and_b64 vcc, exec, vcc
	s_or_b64 s[48:49], vcc, s[48:49]
	s_andn2_b64 vcc, s[50:51], exec
	s_and_b64 s[50:51], s[52:53], exec
	s_or_b64 s[50:51], vcc, s[50:51]
	s_andn2_b64 exec, exec, s[48:49]
	s_cbranch_execz .LBB4_105
.LBB4_101:                              ;   Parent Loop BB4_21 Depth=1
                                        ;     Parent Loop BB4_70 Depth=2
                                        ; =>    This Inner Loop Header: Depth=3
	s_add_i32 s70, s70, 1
	s_cmpk_lg_i32 s70, 0x2710
	s_cselect_b64 s[54:55], -1, 0
	s_and_b64 vcc, exec, s[54:55]
                                        ; implicit-def: $sgpr56_sgpr57
	s_cbranch_vccnz .LBB4_103
; %bb.102:                              ;   in Loop: Header=BB4_101 Depth=3
	s_trap 2
	ds_read_b64 v[0:1], v0
	s_andn2_b64 s[54:55], s[54:55], exec
	s_mov_b32 s70, 0
	s_mov_b64 s[56:57], -1
	s_waitcnt lgkmcnt(0)
	flat_load_dword v0, v[0:1] glc
	s_waitcnt vmcnt(0) lgkmcnt(0)
	buffer_invl2
	buffer_wbinvl1_vol
	v_cmp_eq_u32_e32 vcc, 0, v0
	s_and_b64 vcc, vcc, exec
	s_or_b64 s[54:55], s[54:55], vcc
.LBB4_103:                              ;   in Loop: Header=BB4_101 Depth=3
	s_andn2_b64 s[52:53], s[52:53], exec
	s_and_b64 s[56:57], s[56:57], exec
	s_mov_b64 vcc, -1
	s_or_b64 s[52:53], s[52:53], s[56:57]
	s_and_saveexec_b64 s[56:57], s[54:55]
	s_cbranch_execz .LBB4_100
; %bb.104:                              ;   in Loop: Header=BB4_101 Depth=3
	s_sleep 1
	s_trap 2
	ds_read_b64 v[0:1], v0
	s_andn2_b64 s[52:53], s[52:53], exec
	s_waitcnt lgkmcnt(0)
	v_cmp_ge_u64_e32 vcc, v[0:1], v[42:43]
	s_orn2_b64 vcc, vcc, exec
	s_branch .LBB4_100
.LBB4_105:                              ;   in Loop: Header=BB4_70 Depth=2
	s_or_b64 exec, exec, s[48:49]
	s_and_saveexec_b64 vcc, s[50:51]
	s_xor_b64 vcc, exec, vcc
	s_cbranch_execz .LBB4_107
; %bb.106:                              ;   in Loop: Header=BB4_70 Depth=2
	v_mov_b32_e32 v0, 1
	ds_write_b32 v0, v0
	s_trap 2
.LBB4_107:                              ;   in Loop: Header=BB4_70 Depth=2
	s_or_b64 exec, exec, s[46:47]
	;;#ASMSTART
	s_wakeup
	;;#ASMEND
.LBB4_108:                              ;   in Loop: Header=BB4_70 Depth=2
	s_or_b64 exec, exec, s[44:45]
.LBB4_109:                              ;   in Loop: Header=BB4_70 Depth=2
	s_andn2_saveexec_b64 vcc, s[42:43]
	s_cbranch_execz .LBB4_111
; %bb.110:                              ;   in Loop: Header=BB4_70 Depth=2
	s_waitcnt vmcnt(0) lgkmcnt(0)
	buffer_wbinvl1_vol
	s_barrier
.LBB4_111:                              ;   in Loop: Header=BB4_70 Depth=2
	s_or_b64 exec, exec, vcc
	s_or_b64 exec, exec, s[18:19]
	v_mov_b32_e32 v0, v44
	s_and_saveexec_b64 s[42:43], s[16:17]
	s_cbranch_execz .LBB4_73
.LBB4_112:                              ;   in Loop: Header=BB4_70 Depth=2
	v_accvgpr_read_b32 v4, a44
	s_waitcnt vmcnt(0) lgkmcnt(0)
	v_ashrrev_i32_e32 v0, 31, v2
	v_accvgpr_read_b32 v3, a22
	v_accvgpr_read_b32 v5, a45
	;; [unrolled: 1-line block ×3, first 2 shown]
	v_mad_u64_u32 v[10:11], s[18:19], v3, v2, v[4:5]
	v_mul_lo_u32 v1, v1, v2
	v_mul_lo_u32 v0, v3, v0
	v_add3_u32 v11, v1, v11, v0
	v_and_b32_e32 v0, 7, v34
	v_mul_lo_u32 v0, v0, s58
	v_ashrrev_i32_e32 v1, 31, v0
	v_lshlrev_b64 v[0:1], 4, v[0:1]
	v_accvgpr_read_b32 v2, a16
	v_add_co_u32_e32 v55, vcc, v2, v0
	v_and_b32_e32 v0, 7, v28
	v_accvgpr_read_b32 v3, a17
	v_mul_lo_u32 v0, v0, s58
	v_addc_co_u32_e32 v57, vcc, v3, v1, vcc
	v_ashrrev_i32_e32 v1, 31, v0
	v_lshlrev_b64 v[0:1], 4, v[0:1]
	v_accvgpr_read_b32 v2, a18
	v_accvgpr_read_b32 v3, a19
	v_add_co_u32_e32 v49, vcc, v2, v0
	v_addc_co_u32_e32 v31, vcc, v3, v1, vcc
	v_mov_b32_e32 v1, v28
	v_add_co_u32_e64 v8, vcc, 0, 0
	v_add_u32_e32 v48, 1, v34
	v_addc_co_u32_e32 v3, vcc, 1, v1, vcc
	s_mov_b64 s[44:45], 0
	v_mov_b32_e32 v9, v21
	v_mov_b32_e32 v0, v44
	s_branch .LBB4_114
.LBB4_113:                              ;   in Loop: Header=BB4_114 Depth=3
	s_or_b64 exec, exec, s[18:19]
	v_lshlrev_b32_e32 v17, 8, v32
	v_add_co_u32_e32 v10, vcc, v10, v56
	v_perm_b32 v1, v17, v1, s65
	v_lshlrev_b32_e32 v17, 8, v25
	v_addc_co_u32_e32 v11, vcc, v11, v45, vcc
	v_lshlrev_b32_e32 v18, 24, v16
	v_perm_b32 v16, v17, v19, s65
	v_and_b32_e32 v2, 0xff, v33
	v_lshl_or_b32 v19, v60, 16, v16
	v_add_co_u32_e32 v16, vcc, v49, v4
	v_lshlrev_b32_e32 v2, 16, v2
	v_addc_co_u32_e32 v17, vcc, v31, v5, vcc
	v_sub_u32_e32 v9, v9, v56
	v_lshl_or_b32 v2, v24, 24, v2
	v_cmp_gt_i32_e32 vcc, 1, v9
	v_or3_b32 v2, v2, v1, v8
	v_or3_b32 v4, v18, v19, v8
	v_mov_b32_e32 v5, v3
	s_or_b64 s[44:45], vcc, s[44:45]
	v_add_u32_e32 v0, v0, v20
	global_store_dwordx4 v[16:17], v[2:5], off
	s_andn2_b64 exec, exec, s[44:45]
	s_cbranch_execz .LBB4_322
.LBB4_114:                              ;   Parent Loop BB4_21 Depth=1
                                        ;     Parent Loop BB4_70 Depth=2
                                        ; =>    This Loop Header: Depth=3
                                        ;         Child Loop BB4_122 Depth 4
	v_and_b32_e32 v4, -4, v10
	v_mov_b32_e32 v5, v11
	global_load_dword v2, v[4:5], off glc slc
	v_min_u32_e32 v1, 8, v9
	v_and_b32_e32 v16, 3, v10
	v_add_co_u32_e32 v16, vcc, v16, v1
	v_addc_co_u32_e64 v17, s[18:19], 0, 0, vcc
	v_mov_b32_e32 v60, 0
	v_cmp_lt_u64_e32 vcc, 4, v[16:17]
	v_mov_b32_e32 v61, 0
	s_and_saveexec_b64 s[18:19], vcc
	s_cbranch_execz .LBB4_116
; %bb.115:                              ;   in Loop: Header=BB4_114 Depth=3
	global_load_dword v61, v[4:5], off offset:4 glc slc
.LBB4_116:                              ;   in Loop: Header=BB4_114 Depth=3
	s_or_b64 exec, exec, s[18:19]
	v_cmp_lt_u64_e32 vcc, 8, v[16:17]
	s_and_saveexec_b64 s[18:19], vcc
	s_cbranch_execz .LBB4_118
; %bb.117:                              ;   in Loop: Header=BB4_114 Depth=3
	global_load_dword v60, v[4:5], off offset:8 glc slc
.LBB4_118:                              ;   in Loop: Header=BB4_114 Depth=3
	s_or_b64 exec, exec, s[18:19]
	v_ashrrev_i32_e32 v1, 31, v0
	v_lshlrev_b64 v[4:5], 4, v[0:1]
	v_add_co_u32_e32 v24, vcc, v55, v4
	v_addc_co_u32_e32 v25, vcc, v57, v5, vcc
	global_load_dwordx4 v[16:19], v[24:25], off glc slc
	v_cmp_eq_u32_e32 vcc, 0, v7
	s_and_saveexec_b64 s[46:47], vcc
	s_cbranch_execz .LBB4_130
; %bb.119:                              ;   in Loop: Header=BB4_114 Depth=3
	s_waitcnt vmcnt(0)
	v_cmp_ne_u32_e32 vcc, v48, v17
	v_cmp_ne_u32_e64 s[18:19], v48, v19
	s_or_b64 s[18:19], vcc, s[18:19]
	v_mov_b32_e32 v7, 0
	s_and_saveexec_b64 s[48:49], s[18:19]
	s_cbranch_execz .LBB4_129
; %bb.120:                              ;   in Loop: Header=BB4_114 Depth=3
	s_mov_b32 s54, 1
	s_mov_b64 s[50:51], 0
	v_mov_b32_e32 v7, 0
	s_branch .LBB4_122
.LBB4_121:                              ;   in Loop: Header=BB4_122 Depth=4
	s_or_b64 exec, exec, s[52:53]
	s_and_b64 s[18:19], exec, s[18:19]
	s_or_b64 s[50:51], s[18:19], s[50:51]
	s_andn2_b64 exec, exec, s[50:51]
	s_cbranch_execz .LBB4_128
.LBB4_122:                              ;   Parent Loop BB4_21 Depth=1
                                        ;     Parent Loop BB4_70 Depth=2
                                        ;       Parent Loop BB4_114 Depth=3
                                        ; =>      This Inner Loop Header: Depth=4
	global_load_dwordx4 v[16:19], v[24:25], off glc slc
	s_add_i32 s54, s54, 1
	s_cmpk_lg_i32 s54, 0x2710
	s_cbranch_scc1 .LBB4_126
; %bb.123:                              ;   in Loop: Header=BB4_122 Depth=4
	s_trap 2
	ds_read_b64 v[26:27], v0
	s_waitcnt vmcnt(0) lgkmcnt(0)
	flat_load_dword v1, v[26:27] glc
	s_waitcnt vmcnt(0) lgkmcnt(0)
	buffer_invl2
	buffer_wbinvl1_vol
	v_cmp_ne_u32_e32 vcc, 0, v1
	s_and_saveexec_b64 s[18:19], vcc
	s_cbranch_execz .LBB4_125
; %bb.124:                              ;   in Loop: Header=BB4_122 Depth=4
	v_mov_b32_e32 v7, 1
	ds_write_b32 v0, v1
	s_trap 2
.LBB4_125:                              ;   in Loop: Header=BB4_122 Depth=4
	s_or_b64 exec, exec, s[18:19]
	s_mov_b32 s54, 0
	v_mov_b32_e32 v1, v7
	v_cmp_eq_u32_e32 vcc, 0, v1
	s_mov_b64 s[18:19], -1
	s_and_saveexec_b64 s[52:53], vcc
	s_cbranch_execz .LBB4_121
	s_branch .LBB4_127
.LBB4_126:                              ;   in Loop: Header=BB4_122 Depth=4
	v_mov_b32_e32 v1, 0
	v_cmp_eq_u32_e32 vcc, 0, v1
	s_mov_b64 s[18:19], -1
	s_and_saveexec_b64 s[52:53], vcc
	s_cbranch_execz .LBB4_121
.LBB4_127:                              ;   in Loop: Header=BB4_122 Depth=4
	s_waitcnt vmcnt(0)
	v_cmp_eq_u32_e32 vcc, v48, v17
	v_cmp_eq_u32_e64 s[18:19], v48, v19
	s_and_b64 s[18:19], vcc, s[18:19]
	s_orn2_b64 s[18:19], s[18:19], exec
	s_branch .LBB4_121
.LBB4_128:                              ;   in Loop: Header=BB4_114 Depth=3
	s_or_b64 exec, exec, s[50:51]
.LBB4_129:                              ;   in Loop: Header=BB4_114 Depth=3
	s_or_b64 exec, exec, s[48:49]
.LBB4_130:                              ;   in Loop: Header=BB4_114 Depth=3
	s_or_b64 exec, exec, s[46:47]
	s_waitcnt vmcnt(0)
	v_cmp_ne_u16_sdwa vcc, v16, v41 src0_sel:BYTE_0 src1_sel:DWORD
	v_mov_b32_e32 v1, 0
	v_mov_b32_e32 v24, 0
	s_and_saveexec_b64 s[18:19], vcc
	s_cbranch_execz .LBB4_136
; %bb.131:                              ;   in Loop: Header=BB4_114 Depth=3
	v_cmp_ne_u16_sdwa vcc, v16, s61 src0_sel:BYTE_0 src1_sel:DWORD
	v_bfrev_b32_e32 v24, 1
	s_and_saveexec_b64 s[46:47], vcc
	s_cbranch_execz .LBB4_135
; %bb.132:                              ;   in Loop: Header=BB4_114 Depth=3
	v_and_b32_e32 v25, 0x7f, v16
	v_cmp_ne_u32_e32 vcc, s62, v25
	v_mov_b32_e32 v24, 0x7f800001
	s_and_saveexec_b64 s[48:49], vcc
	s_cbranch_execz .LBB4_134
; %bb.133:                              ;   in Loop: Header=BB4_114 Depth=3
	v_and_b32_e32 v22, 7, v16
	v_ffbh_u32_e32 v22, v22
	v_min_u32_e32 v22, 32, v22
	v_lshrrev_b32_e32 v23, 3, v25
	v_subrev_u32_e32 v24, 28, v22
	v_sub_u32_e32 v22, 29, v22
	v_cmp_gt_u32_e32 vcc, 8, v25
	v_cndmask_b32_e32 v22, v23, v22, vcc
	v_cndmask_b32_e32 v23, 0, v24, vcc
	v_lshlrev_b64 v[24:25], v23, v[16:17]
	v_lshlrev_b32_e32 v17, 20, v24
	v_lshlrev_b32_e32 v23, 24, v16
	v_and_b32_e32 v17, 0x700000, v17
	v_and_b32_e32 v23, 0x80000000, v23
	v_lshl_add_u32 v22, v22, 23, v46
	v_or3_b32 v24, v23, v22, v17
.LBB4_134:                              ;   in Loop: Header=BB4_114 Depth=3
	s_or_b64 exec, exec, s[48:49]
.LBB4_135:                              ;   in Loop: Header=BB4_114 Depth=3
	s_or_b64 exec, exec, s[46:47]
.LBB4_136:                              ;   in Loop: Header=BB4_114 Depth=3
	s_or_b64 exec, exec, s[18:19]
	v_lshlrev_b32_e32 v62, 3, v10
	v_alignbit_b32 v40, v61, v2, v62
	v_cmp_ne_u16_sdwa vcc, v40, v41 src0_sel:BYTE_0 src1_sel:DWORD
	s_and_saveexec_b64 s[18:19], vcc
	s_cbranch_execz .LBB4_142
; %bb.137:                              ;   in Loop: Header=BB4_114 Depth=3
	v_cmp_ne_u16_sdwa vcc, v40, s61 src0_sel:BYTE_0 src1_sel:DWORD
	v_bfrev_b32_e32 v1, 1
	s_and_saveexec_b64 s[46:47], vcc
	s_cbranch_execz .LBB4_141
; %bb.138:                              ;   in Loop: Header=BB4_114 Depth=3
	v_and_b32_e32 v2, 0x7f, v40
	v_cmp_ne_u32_e32 vcc, s62, v2
	v_mov_b32_e32 v1, 0x7f800001
	s_and_saveexec_b64 s[48:49], vcc
	s_cbranch_execz .LBB4_140
; %bb.139:                              ;   in Loop: Header=BB4_114 Depth=3
	v_and_b32_e32 v1, 7, v40
	v_ffbh_u32_e32 v1, v1
	v_min_u32_e32 v1, 32, v1
	v_subrev_u32_e32 v22, 28, v1
	v_cmp_gt_u32_e32 vcc, 8, v2
	v_lshrrev_b32_e32 v17, 3, v2
	v_cndmask_b32_e32 v2, 0, v22, vcc
	v_sub_u32_e32 v1, 29, v1
	v_lshlrev_b64 v[26:27], v2, v[40:41]
	v_cndmask_b32_e32 v1, v17, v1, vcc
	v_lshlrev_b32_e32 v2, 20, v26
	v_lshlrev_b32_e32 v17, 24, v40
	v_and_b32_e32 v2, 0x700000, v2
	v_and_b32_e32 v17, 0x80000000, v17
	v_lshl_add_u32 v1, v1, 23, v46
	v_or3_b32 v1, v17, v1, v2
.LBB4_140:                              ;   in Loop: Header=BB4_114 Depth=3
	s_or_b64 exec, exec, s[48:49]
.LBB4_141:                              ;   in Loop: Header=BB4_114 Depth=3
	s_or_b64 exec, exec, s[46:47]
.LBB4_142:                              ;   in Loop: Header=BB4_114 Depth=3
	s_or_b64 exec, exec, s[18:19]
	v_mul_f32_e32 v17, v24, v1
	v_and_b32_sdwa v2, v17, s61 dst_sel:DWORD dst_unused:UNUSED_PAD src0_sel:BYTE_3 src1_sel:DWORD
	v_and_b32_e32 v26, 0x7f800000, v17
	v_mov_b32_e32 v27, v41
	v_and_b32_e32 v24, 0x7fffff, v17
	v_mov_b32_e32 v25, v41
	v_or_b32_e32 v1, 0x7e, v2
	v_cmp_ne_u64_e32 vcc, s[36:37], v[26:27]
	s_and_saveexec_b64 s[18:19], vcc
	s_xor_b64 s[46:47], exec, s[18:19]
	s_cbranch_execz .LBB4_152
; %bb.143:                              ;   in Loop: Header=BB4_114 Depth=3
	v_and_b32_e32 v26, 0x7fffffff, v17
	v_mov_b32_e32 v27, v41
	v_cmp_gt_u64_e32 vcc, s[38:39], v[26:27]
	s_and_saveexec_b64 s[48:49], vcc
	s_cbranch_execz .LBB4_151
; %bb.144:                              ;   in Loop: Header=BB4_114 Depth=3
	v_cmp_ne_u32_e32 vcc, 0, v17
	v_mov_b32_e32 v1, 0
	s_and_saveexec_b64 s[50:51], vcc
	s_cbranch_execz .LBB4_150
; %bb.145:                              ;   in Loop: Header=BB4_114 Depth=3
	v_bfe_u32 v1, v17, 23, 8
	v_sub_u32_e32 v22, 0x79, v1
	v_cmp_gt_u32_e32 vcc, s63, v1
	v_add_u32_e32 v17, 0xffffff81, v1
	v_cndmask_b32_e32 v22, 0, v22, vcc
	v_cmp_eq_u32_e32 vcc, 0, v1
	v_cndmask_b32_e32 v1, v17, v47, vcc
	v_cndmask_b32_e32 v17, v22, v30, vcc
	v_add_u32_e32 v22, 20, v17
	v_or_b32_e32 v23, 0x800000, v24
	v_lshlrev_b64 v[26:27], v22, -1
	v_cndmask_b32_e32 v24, v23, v24, vcc
	v_not_b32_e32 v23, v26
	v_not_b32_e32 v22, v27
	v_and_b32_e32 v26, v24, v23
	v_lshrrev_b64 v[24:25], v17, v[24:25]
	v_and_b32_e32 v27, 0, v22
	v_add_u32_e32 v22, 19, v17
	v_lshrrev_b32_e32 v32, 23, v24
	v_lshlrev_b64 v[22:23], v22, 1
	v_add3_u32 v32, v17, v1, v32
	v_bfe_u32 v1, v24, 20, 1
	v_add_u32_e32 v1, -1, v1
	v_cmp_eq_u64_e32 vcc, v[26:27], v[22:23]
	v_cndmask_b32_e32 v1, 0, v1, vcc
	v_add_u32_e32 v1, v1, v24
	v_and_b32_e32 v1, 0xfffff, v1
	v_add_co_u32_e32 v24, vcc, v1, v24
	v_add_u32_e32 v17, 6, v32
	v_addc_co_u32_e32 v25, vcc, 0, v25, vcc
	v_cmp_ne_u32_e32 vcc, 0, v17
                                        ; implicit-def: $vgpr1
	s_and_saveexec_b64 s[18:19], vcc
	s_xor_b64 s[18:19], exec, s[18:19]
; %bb.146:                              ;   in Loop: Header=BB4_114 Depth=3
	v_add_u32_e32 v1, 7, v32
	v_cmp_lt_u64_e32 vcc, s[40:41], v[24:25]
	v_cndmask_b32_e32 v1, v17, v1, vcc
	v_cndmask_b32_e64 v17, 0, 1, vcc
	v_lshrrev_b64 v[24:25], v17, v[24:25]
; %bb.147:                              ;   in Loop: Header=BB4_114 Depth=3
	s_andn2_saveexec_b64 s[18:19], s[18:19]
; %bb.148:                              ;   in Loop: Header=BB4_114 Depth=3
	v_bfe_u32 v1, v24, 23, 1
; %bb.149:                              ;   in Loop: Header=BB4_114 Depth=3
	s_or_b64 exec, exec, s[18:19]
	v_lshrrev_b64 v[22:23], 20, v[24:25]
	v_cmp_gt_i32_e32 vcc, 16, v1
	v_cndmask_b32_e32 v23, 0, v23, vcc
	v_cndmask_b32_e32 v22, 7, v22, vcc
	v_cmp_eq_u32_e32 vcc, 0, v1
	v_min_i32_e32 v1, 15, v1
	v_cmp_eq_u64_e64 s[18:19], 0, v[22:23]
	v_lshlrev_b32_e32 v1, 3, v1
	v_and_or_b32 v1, v22, 7, v1
	s_and_b64 s[18:19], vcc, s[18:19]
	v_cndmask_b32_e64 v1, v1, 0, s[18:19]
	v_or_b32_e32 v1, v1, v2
.LBB4_150:                              ;   in Loop: Header=BB4_114 Depth=3
	s_or_b64 exec, exec, s[50:51]
.LBB4_151:                              ;   in Loop: Header=BB4_114 Depth=3
	s_or_b64 exec, exec, s[48:49]
                                        ; implicit-def: $vgpr17
                                        ; implicit-def: $vgpr24_vgpr25
.LBB4_152:                              ;   in Loop: Header=BB4_114 Depth=3
	s_andn2_saveexec_b64 s[18:19], s[46:47]
; %bb.153:                              ;   in Loop: Header=BB4_114 Depth=3
	v_or_b32_sdwa v2, v17, s62 dst_sel:DWORD dst_unused:UNUSED_PAD src0_sel:BYTE_3 src1_sel:DWORD
	v_cmp_eq_u64_e32 vcc, 0, v[24:25]
	v_cndmask_b32_e32 v1, v2, v1, vcc
; %bb.154:                              ;   in Loop: Header=BB4_114 Depth=3
	s_or_b64 exec, exec, s[18:19]
	v_lshrrev_b16_e32 v2, 8, v16
	v_cmp_ne_u16_e32 vcc, 0, v2
	v_mov_b32_e32 v17, 0
	v_mov_b32_e32 v24, 0
	s_and_saveexec_b64 s[18:19], vcc
	s_cbranch_execz .LBB4_160
; %bb.155:                              ;   in Loop: Header=BB4_114 Depth=3
	v_cmp_ne_u16_e32 vcc, s61, v2
	v_bfrev_b32_e32 v24, 1
	s_and_saveexec_b64 s[46:47], vcc
	s_cbranch_execz .LBB4_159
; %bb.156:                              ;   in Loop: Header=BB4_114 Depth=3
	v_and_b32_e32 v25, 0x7f, v2
	v_cmp_ne_u32_e32 vcc, s62, v25
	v_mov_b32_e32 v24, 0x7f800001
	s_and_saveexec_b64 s[48:49], vcc
	s_cbranch_execz .LBB4_158
; %bb.157:                              ;   in Loop: Header=BB4_114 Depth=3
	v_and_b32_e32 v24, 7, v2
	v_ffbh_u32_e32 v22, v24
	v_min_u32_e32 v27, 32, v22
	v_subrev_u32_e32 v22, 28, v27
	v_lshlrev_b64 v[22:23], v22, v[2:3]
	v_lshrrev_b32_e32 v26, 3, v25
	v_sub_u32_e32 v2, 29, v27
	v_and_b32_e32 v22, 7, v22
	v_cmp_gt_u32_e32 vcc, 8, v25
	v_cndmask_b32_e32 v2, v26, v2, vcc
	v_cndmask_b32_e32 v22, v24, v22, vcc
	v_lshlrev_b32_e32 v23, 16, v16
	v_lshlrev_b32_e32 v22, 20, v22
	v_and_b32_e32 v23, 0x80000000, v23
	v_lshl_add_u32 v2, v2, 23, v46
	v_or3_b32 v24, v23, v2, v22
.LBB4_158:                              ;   in Loop: Header=BB4_114 Depth=3
	s_or_b64 exec, exec, s[48:49]
.LBB4_159:                              ;   in Loop: Header=BB4_114 Depth=3
	s_or_b64 exec, exec, s[46:47]
.LBB4_160:                              ;   in Loop: Header=BB4_114 Depth=3
	s_or_b64 exec, exec, s[18:19]
	v_lshrrev_b16_e32 v2, 8, v40
	v_cmp_ne_u16_e32 vcc, 0, v2
	s_and_saveexec_b64 s[18:19], vcc
	s_cbranch_execz .LBB4_166
; %bb.161:                              ;   in Loop: Header=BB4_114 Depth=3
	v_cmp_ne_u16_e32 vcc, s61, v2
	v_bfrev_b32_e32 v17, 1
	s_and_saveexec_b64 s[46:47], vcc
	s_cbranch_execz .LBB4_165
; %bb.162:                              ;   in Loop: Header=BB4_114 Depth=3
	v_and_b32_e32 v25, 0x7f, v2
	v_cmp_ne_u32_e32 vcc, s62, v25
	v_mov_b32_e32 v17, 0x7f800001
	s_and_saveexec_b64 s[48:49], vcc
	s_cbranch_execz .LBB4_164
; %bb.163:                              ;   in Loop: Header=BB4_114 Depth=3
	v_and_b32_e32 v17, 7, v2
	v_ffbh_u32_e32 v22, v17
	v_min_u32_e32 v27, 32, v22
	v_subrev_u32_e32 v22, 28, v27
	v_lshlrev_b64 v[22:23], v22, v[2:3]
	v_lshrrev_b32_e32 v26, 3, v25
	v_sub_u32_e32 v2, 29, v27
	v_and_b32_e32 v22, 7, v22
	v_cmp_gt_u32_e32 vcc, 8, v25
	v_cndmask_b32_e32 v2, v26, v2, vcc
	v_cndmask_b32_e32 v17, v17, v22, vcc
	v_lshlrev_b32_e32 v22, 16, v40
	v_lshlrev_b32_e32 v17, 20, v17
	v_and_b32_e32 v22, 0x80000000, v22
	v_lshl_add_u32 v2, v2, 23, v46
	v_or3_b32 v17, v22, v2, v17
.LBB4_164:                              ;   in Loop: Header=BB4_114 Depth=3
	s_or_b64 exec, exec, s[48:49]
.LBB4_165:                              ;   in Loop: Header=BB4_114 Depth=3
	s_or_b64 exec, exec, s[46:47]
.LBB4_166:                              ;   in Loop: Header=BB4_114 Depth=3
	s_or_b64 exec, exec, s[18:19]
	v_mul_f32_e32 v17, v24, v17
	v_and_b32_sdwa v2, v17, s61 dst_sel:DWORD dst_unused:UNUSED_PAD src0_sel:BYTE_3 src1_sel:DWORD
	v_and_b32_e32 v22, 0x7f800000, v17
	v_mov_b32_e32 v23, v41
	v_and_b32_e32 v24, 0x7fffff, v17
	v_mov_b32_e32 v25, v41
	v_or_b32_e32 v32, 0x7e, v2
	v_cmp_ne_u64_e32 vcc, s[36:37], v[22:23]
	s_and_saveexec_b64 s[18:19], vcc
	s_xor_b64 s[46:47], exec, s[18:19]
	s_cbranch_execz .LBB4_176
; %bb.167:                              ;   in Loop: Header=BB4_114 Depth=3
	v_and_b32_e32 v22, 0x7fffffff, v17
	v_mov_b32_e32 v23, v41
	v_cmp_gt_u64_e32 vcc, s[38:39], v[22:23]
	s_and_saveexec_b64 s[48:49], vcc
	s_cbranch_execz .LBB4_175
; %bb.168:                              ;   in Loop: Header=BB4_114 Depth=3
	v_cmp_ne_u32_e32 vcc, 0, v17
	v_mov_b32_e32 v32, 0
	s_and_saveexec_b64 s[50:51], vcc
	s_cbranch_execz .LBB4_174
; %bb.169:                              ;   in Loop: Header=BB4_114 Depth=3
	v_bfe_u32 v17, v17, 23, 8
	v_sub_u32_e32 v23, 0x79, v17
	v_cmp_gt_u32_e32 vcc, s63, v17
	v_cndmask_b32_e32 v23, 0, v23, vcc
	v_cmp_eq_u32_e32 vcc, 0, v17
	v_add_u32_e32 v22, 0xffffff81, v17
	v_cndmask_b32_e32 v32, v23, v30, vcc
	v_cndmask_b32_e32 v17, v22, v47, vcc
	v_add_u32_e32 v22, 20, v32
	v_or_b32_e32 v26, 0x800000, v24
	v_lshlrev_b64 v[22:23], v22, -1
	v_cndmask_b32_e32 v24, v26, v24, vcc
	v_not_b32_e32 v22, v22
	v_and_b32_e32 v22, v24, v22
	v_lshrrev_b64 v[24:25], v32, v[24:25]
	v_not_b32_e32 v23, v23
	v_add_u32_e32 v26, 19, v32
	v_lshrrev_b32_e32 v33, 23, v24
	v_and_b32_e32 v23, 0, v23
	v_lshlrev_b64 v[26:27], v26, 1
	v_add3_u32 v33, v32, v17, v33
	v_bfe_u32 v17, v24, 20, 1
	v_add_u32_e32 v17, -1, v17
	v_cmp_eq_u64_e32 vcc, v[22:23], v[26:27]
	v_cndmask_b32_e32 v17, 0, v17, vcc
	v_add_u32_e32 v17, v17, v24
	v_and_b32_e32 v17, 0xfffff, v17
	v_add_co_u32_e32 v24, vcc, v17, v24
	v_add_u32_e32 v32, 6, v33
	v_addc_co_u32_e32 v25, vcc, 0, v25, vcc
	v_cmp_ne_u32_e32 vcc, 0, v32
                                        ; implicit-def: $vgpr17
	s_and_saveexec_b64 s[18:19], vcc
	s_xor_b64 s[18:19], exec, s[18:19]
; %bb.170:                              ;   in Loop: Header=BB4_114 Depth=3
	v_cmp_lt_u64_e32 vcc, s[40:41], v[24:25]
	v_add_u32_e32 v17, 7, v33
	v_cndmask_b32_e64 v22, 0, 1, vcc
	v_cndmask_b32_e32 v17, v32, v17, vcc
	v_lshrrev_b64 v[24:25], v22, v[24:25]
; %bb.171:                              ;   in Loop: Header=BB4_114 Depth=3
	s_andn2_saveexec_b64 s[18:19], s[18:19]
; %bb.172:                              ;   in Loop: Header=BB4_114 Depth=3
	v_bfe_u32 v17, v24, 23, 1
; %bb.173:                              ;   in Loop: Header=BB4_114 Depth=3
	s_or_b64 exec, exec, s[18:19]
	v_lshrrev_b64 v[22:23], 20, v[24:25]
	v_cmp_gt_i32_e32 vcc, 16, v17
	v_cndmask_b32_e32 v23, 0, v23, vcc
	v_cndmask_b32_e32 v22, 7, v22, vcc
	v_cmp_eq_u32_e32 vcc, 0, v17
	v_min_i32_e32 v17, 15, v17
	v_cmp_eq_u64_e64 s[18:19], 0, v[22:23]
	v_lshlrev_b32_e32 v17, 3, v17
	v_and_or_b32 v17, v22, 7, v17
	s_and_b64 s[18:19], vcc, s[18:19]
	v_cndmask_b32_e64 v17, v17, 0, s[18:19]
	v_or_b32_e32 v32, v17, v2
.LBB4_174:                              ;   in Loop: Header=BB4_114 Depth=3
	s_or_b64 exec, exec, s[50:51]
.LBB4_175:                              ;   in Loop: Header=BB4_114 Depth=3
	s_or_b64 exec, exec, s[48:49]
                                        ; implicit-def: $vgpr17
                                        ; implicit-def: $vgpr24_vgpr25
.LBB4_176:                              ;   in Loop: Header=BB4_114 Depth=3
	s_andn2_saveexec_b64 s[18:19], s[46:47]
; %bb.177:                              ;   in Loop: Header=BB4_114 Depth=3
	v_or_b32_sdwa v2, v17, s62 dst_sel:DWORD dst_unused:UNUSED_PAD src0_sel:BYTE_3 src1_sel:DWORD
	v_cmp_eq_u64_e32 vcc, 0, v[24:25]
	v_cndmask_b32_e32 v32, v2, v32, vcc
; %bb.178:                              ;   in Loop: Header=BB4_114 Depth=3
	s_or_b64 exec, exec, s[18:19]
	v_lshrrev_b32_e32 v2, 16, v16
	v_cmp_ne_u16_sdwa vcc, v2, v41 src0_sel:BYTE_0 src1_sel:DWORD
	v_mov_b32_e32 v17, 0
	v_mov_b32_e32 v24, 0
	s_and_saveexec_b64 s[18:19], vcc
	s_cbranch_execz .LBB4_184
; %bb.179:                              ;   in Loop: Header=BB4_114 Depth=3
	v_cmp_ne_u16_sdwa vcc, v2, s61 src0_sel:BYTE_0 src1_sel:DWORD
	v_bfrev_b32_e32 v24, 1
	s_and_saveexec_b64 s[46:47], vcc
	s_cbranch_execz .LBB4_183
; %bb.180:                              ;   in Loop: Header=BB4_114 Depth=3
	v_bfe_u32 v25, v16, 16, 7
	v_cmp_ne_u32_e32 vcc, s62, v25
	v_mov_b32_e32 v24, 0x7f800001
	s_and_saveexec_b64 s[48:49], vcc
	s_cbranch_execz .LBB4_182
; %bb.181:                              ;   in Loop: Header=BB4_114 Depth=3
	v_and_b32_e32 v24, 7, v2
	v_ffbh_u32_e32 v22, v24
	v_min_u32_e32 v27, 32, v22
	v_subrev_u32_e32 v22, 28, v27
	v_lshlrev_b64 v[22:23], v22, v[2:3]
	v_lshrrev_b32_e32 v26, 3, v25
	v_sub_u32_e32 v23, 29, v27
	v_and_b32_e32 v22, 7, v22
	v_cmp_gt_u32_e32 vcc, 8, v25
	v_cndmask_b32_e32 v23, v26, v23, vcc
	v_cndmask_b32_e32 v22, v24, v22, vcc
	v_lshlrev_b32_e32 v2, 24, v2
	v_lshlrev_b32_e32 v22, 20, v22
	v_and_b32_e32 v2, 0x80000000, v2
	v_lshl_add_u32 v23, v23, 23, v46
	v_or3_b32 v24, v2, v23, v22
.LBB4_182:                              ;   in Loop: Header=BB4_114 Depth=3
	s_or_b64 exec, exec, s[48:49]
.LBB4_183:                              ;   in Loop: Header=BB4_114 Depth=3
	s_or_b64 exec, exec, s[46:47]
.LBB4_184:                              ;   in Loop: Header=BB4_114 Depth=3
	s_or_b64 exec, exec, s[18:19]
	v_and_b32_sdwa v25, v40, s60 dst_sel:DWORD dst_unused:UNUSED_PAD src0_sel:WORD_1 src1_sel:DWORD
	v_lshrrev_b32_e32 v2, 16, v40
	v_cmp_ne_u16_e32 vcc, 0, v25
	s_and_saveexec_b64 s[18:19], vcc
	s_cbranch_execz .LBB4_190
; %bb.185:                              ;   in Loop: Header=BB4_114 Depth=3
	v_cmp_ne_u16_e32 vcc, s61, v25
	v_bfrev_b32_e32 v17, 1
	s_and_saveexec_b64 s[46:47], vcc
	s_cbranch_execz .LBB4_189
; %bb.186:                              ;   in Loop: Header=BB4_114 Depth=3
	v_bfe_u32 v25, v40, 16, 7
	v_cmp_ne_u32_e32 vcc, s62, v25
	v_mov_b32_e32 v17, 0x7f800001
	s_and_saveexec_b64 s[48:49], vcc
	s_cbranch_execz .LBB4_188
; %bb.187:                              ;   in Loop: Header=BB4_114 Depth=3
	v_and_b32_e32 v17, 7, v2
	v_ffbh_u32_e32 v22, v17
	v_min_u32_e32 v27, 32, v22
	v_subrev_u32_e32 v22, 28, v27
	v_lshlrev_b64 v[22:23], v22, v[2:3]
	v_lshrrev_b32_e32 v26, 3, v25
	v_sub_u32_e32 v2, 29, v27
	v_and_b32_e32 v22, 7, v22
	v_cmp_gt_u32_e32 vcc, 8, v25
	v_cndmask_b32_e32 v2, v26, v2, vcc
	v_cndmask_b32_e32 v17, v17, v22, vcc
	v_lshlrev_b32_e32 v22, 8, v40
	v_lshlrev_b32_e32 v17, 20, v17
	v_and_b32_e32 v22, 0x80000000, v22
	v_lshl_add_u32 v2, v2, 23, v46
	v_or3_b32 v17, v22, v2, v17
.LBB4_188:                              ;   in Loop: Header=BB4_114 Depth=3
	s_or_b64 exec, exec, s[48:49]
.LBB4_189:                              ;   in Loop: Header=BB4_114 Depth=3
	s_or_b64 exec, exec, s[46:47]
.LBB4_190:                              ;   in Loop: Header=BB4_114 Depth=3
	s_or_b64 exec, exec, s[18:19]
	v_mul_f32_e32 v17, v24, v17
	v_and_b32_sdwa v2, v17, s61 dst_sel:DWORD dst_unused:UNUSED_PAD src0_sel:BYTE_3 src1_sel:DWORD
	v_and_b32_e32 v22, 0x7f800000, v17
	v_mov_b32_e32 v23, v41
	v_and_b32_e32 v24, 0x7fffff, v17
	v_mov_b32_e32 v25, v41
	v_or_b32_e32 v33, 0x7e, v2
	v_cmp_ne_u64_e32 vcc, s[36:37], v[22:23]
	s_and_saveexec_b64 s[18:19], vcc
	s_xor_b64 s[46:47], exec, s[18:19]
	s_cbranch_execz .LBB4_200
; %bb.191:                              ;   in Loop: Header=BB4_114 Depth=3
	v_and_b32_e32 v22, 0x7fffffff, v17
	v_mov_b32_e32 v23, v41
	v_cmp_gt_u64_e32 vcc, s[38:39], v[22:23]
	s_and_saveexec_b64 s[48:49], vcc
	s_cbranch_execz .LBB4_199
; %bb.192:                              ;   in Loop: Header=BB4_114 Depth=3
	v_cmp_ne_u32_e32 vcc, 0, v17
	v_mov_b32_e32 v33, 0
	s_and_saveexec_b64 s[50:51], vcc
	s_cbranch_execz .LBB4_198
; %bb.193:                              ;   in Loop: Header=BB4_114 Depth=3
	v_bfe_u32 v17, v17, 23, 8
	v_sub_u32_e32 v23, 0x79, v17
	v_cmp_gt_u32_e32 vcc, s63, v17
	v_cndmask_b32_e32 v23, 0, v23, vcc
	v_cmp_eq_u32_e32 vcc, 0, v17
	v_add_u32_e32 v22, 0xffffff81, v17
	v_cndmask_b32_e32 v27, v23, v30, vcc
	v_cndmask_b32_e32 v17, v22, v47, vcc
	v_add_u32_e32 v22, 20, v27
	v_or_b32_e32 v26, 0x800000, v24
	v_lshlrev_b64 v[22:23], v22, -1
	v_cndmask_b32_e32 v24, v26, v24, vcc
	v_not_b32_e32 v22, v22
	v_and_b32_e32 v22, v24, v22
	v_add_u32_e32 v26, 19, v27
	v_lshrrev_b64 v[24:25], v27, v[24:25]
	v_not_b32_e32 v23, v23
	v_lshlrev_b64 v[36:37], v26, 1
	v_lshrrev_b32_e32 v26, 23, v24
	v_and_b32_e32 v23, 0, v23
	v_add3_u32 v26, v27, v17, v26
	v_bfe_u32 v17, v24, 20, 1
	v_add_u32_e32 v17, -1, v17
	v_cmp_eq_u64_e32 vcc, v[22:23], v[36:37]
	v_cndmask_b32_e32 v17, 0, v17, vcc
	v_add_u32_e32 v17, v17, v24
	v_and_b32_e32 v17, 0xfffff, v17
	v_add_co_u32_e32 v24, vcc, v17, v24
	v_add_u32_e32 v33, 6, v26
	v_addc_co_u32_e32 v25, vcc, 0, v25, vcc
	v_cmp_ne_u32_e32 vcc, 0, v33
                                        ; implicit-def: $vgpr17
	s_and_saveexec_b64 s[18:19], vcc
	s_xor_b64 s[18:19], exec, s[18:19]
; %bb.194:                              ;   in Loop: Header=BB4_114 Depth=3
	v_cmp_lt_u64_e32 vcc, s[40:41], v[24:25]
	v_add_u32_e32 v17, 7, v26
	v_cndmask_b32_e64 v22, 0, 1, vcc
	v_cndmask_b32_e32 v17, v33, v17, vcc
	v_lshrrev_b64 v[24:25], v22, v[24:25]
; %bb.195:                              ;   in Loop: Header=BB4_114 Depth=3
	s_andn2_saveexec_b64 s[18:19], s[18:19]
; %bb.196:                              ;   in Loop: Header=BB4_114 Depth=3
	v_bfe_u32 v17, v24, 23, 1
; %bb.197:                              ;   in Loop: Header=BB4_114 Depth=3
	s_or_b64 exec, exec, s[18:19]
	v_lshrrev_b64 v[22:23], 20, v[24:25]
	v_cmp_gt_i32_e32 vcc, 16, v17
	v_cndmask_b32_e32 v23, 0, v23, vcc
	v_cndmask_b32_e32 v22, 7, v22, vcc
	v_cmp_eq_u32_e32 vcc, 0, v17
	v_min_i32_e32 v17, 15, v17
	v_cmp_eq_u64_e64 s[18:19], 0, v[22:23]
	v_lshlrev_b32_e32 v17, 3, v17
	v_and_or_b32 v17, v22, 7, v17
	s_and_b64 s[18:19], vcc, s[18:19]
	v_cndmask_b32_e64 v17, v17, 0, s[18:19]
	v_or_b32_e32 v33, v17, v2
.LBB4_198:                              ;   in Loop: Header=BB4_114 Depth=3
	s_or_b64 exec, exec, s[50:51]
.LBB4_199:                              ;   in Loop: Header=BB4_114 Depth=3
	s_or_b64 exec, exec, s[48:49]
                                        ; implicit-def: $vgpr17
                                        ; implicit-def: $vgpr24_vgpr25
.LBB4_200:                              ;   in Loop: Header=BB4_114 Depth=3
	s_andn2_saveexec_b64 s[18:19], s[46:47]
; %bb.201:                              ;   in Loop: Header=BB4_114 Depth=3
	v_or_b32_sdwa v2, v17, s62 dst_sel:DWORD dst_unused:UNUSED_PAD src0_sel:BYTE_3 src1_sel:DWORD
	v_cmp_eq_u64_e32 vcc, 0, v[24:25]
	v_cndmask_b32_e32 v33, v2, v33, vcc
; %bb.202:                              ;   in Loop: Header=BB4_114 Depth=3
	s_or_b64 exec, exec, s[18:19]
	v_cmp_lt_u32_e32 vcc, s64, v16
	v_mov_b32_e32 v17, 0
	v_mov_b32_e32 v24, 0
	s_and_saveexec_b64 s[18:19], vcc
	s_cbranch_execz .LBB4_208
; %bb.203:                              ;   in Loop: Header=BB4_114 Depth=3
	v_lshrrev_b32_e32 v2, 24, v16
	v_cmp_ne_u32_e32 vcc, s61, v2
	v_bfrev_b32_e32 v24, 1
	s_and_saveexec_b64 s[46:47], vcc
	s_cbranch_execz .LBB4_207
; %bb.204:                              ;   in Loop: Header=BB4_114 Depth=3
	v_bfe_u32 v16, v16, 24, 7
	v_cmp_ne_u32_e32 vcc, s62, v16
	v_mov_b32_e32 v24, 0x7f800001
	s_and_saveexec_b64 s[48:49], vcc
	s_cbranch_execz .LBB4_206
; %bb.205:                              ;   in Loop: Header=BB4_114 Depth=3
	v_and_b32_e32 v24, 7, v2
	v_ffbh_u32_e32 v22, v24
	v_min_u32_e32 v26, 32, v22
	v_subrev_u32_e32 v22, 28, v26
	v_lshlrev_b64 v[22:23], v22, v[2:3]
	v_lshrrev_b32_e32 v25, 3, v16
	v_sub_u32_e32 v23, 29, v26
	v_and_b32_e32 v22, 7, v22
	v_cmp_gt_u32_e32 vcc, 8, v16
	v_cndmask_b32_e32 v16, v25, v23, vcc
	v_cndmask_b32_e32 v22, v24, v22, vcc
	v_lshlrev_b32_e32 v2, 24, v2
	v_lshlrev_b32_e32 v22, 20, v22
	v_and_b32_e32 v2, 0x80000000, v2
	v_lshl_add_u32 v16, v16, 23, v46
	v_or3_b32 v24, v2, v16, v22
.LBB4_206:                              ;   in Loop: Header=BB4_114 Depth=3
	s_or_b64 exec, exec, s[48:49]
.LBB4_207:                              ;   in Loop: Header=BB4_114 Depth=3
	s_or_b64 exec, exec, s[46:47]
.LBB4_208:                              ;   in Loop: Header=BB4_114 Depth=3
	s_or_b64 exec, exec, s[18:19]
	v_cmp_lt_u32_e32 vcc, s64, v40
	s_and_saveexec_b64 s[18:19], vcc
	s_cbranch_execz .LBB4_214
; %bb.209:                              ;   in Loop: Header=BB4_114 Depth=3
	v_lshrrev_b32_e32 v2, 24, v40
	v_cmp_ne_u32_sdwa vcc, v40, s61 src0_sel:BYTE_3 src1_sel:DWORD
	v_bfrev_b32_e32 v17, 1
	s_and_saveexec_b64 s[46:47], vcc
	s_cbranch_execz .LBB4_213
; %bb.210:                              ;   in Loop: Header=BB4_114 Depth=3
	v_bfe_u32 v16, v40, 24, 7
	v_cmp_ne_u32_e32 vcc, s62, v16
	v_mov_b32_e32 v17, 0x7f800001
	s_and_saveexec_b64 s[48:49], vcc
	s_cbranch_execz .LBB4_212
; %bb.211:                              ;   in Loop: Header=BB4_114 Depth=3
	v_and_b32_e32 v17, 7, v2
	v_ffbh_u32_e32 v22, v17
	v_min_u32_e32 v26, 32, v22
	v_subrev_u32_e32 v22, 28, v26
	v_lshlrev_b64 v[22:23], v22, v[2:3]
	v_lshrrev_b32_e32 v25, 3, v16
	v_sub_u32_e32 v2, 29, v26
	v_and_b32_e32 v22, 7, v22
	v_cmp_gt_u32_e32 vcc, 8, v16
	v_cndmask_b32_e32 v2, v25, v2, vcc
	v_cndmask_b32_e32 v16, v17, v22, vcc
	v_lshlrev_b32_sdwa v17, v6, v40 dst_sel:DWORD dst_unused:UNUSED_PAD src0_sel:DWORD src1_sel:BYTE_3
	v_lshlrev_b32_e32 v16, 20, v16
	v_and_b32_e32 v17, 0x80000000, v17
	v_lshl_add_u32 v2, v2, 23, v46
	v_or3_b32 v17, v17, v2, v16
.LBB4_212:                              ;   in Loop: Header=BB4_114 Depth=3
	s_or_b64 exec, exec, s[48:49]
.LBB4_213:                              ;   in Loop: Header=BB4_114 Depth=3
	s_or_b64 exec, exec, s[46:47]
.LBB4_214:                              ;   in Loop: Header=BB4_114 Depth=3
	s_or_b64 exec, exec, s[18:19]
	v_mul_f32_e32 v16, v24, v17
	v_and_b32_sdwa v2, v16, s61 dst_sel:DWORD dst_unused:UNUSED_PAD src0_sel:BYTE_3 src1_sel:DWORD
	v_and_b32_e32 v22, 0x7f800000, v16
	v_mov_b32_e32 v23, v41
	v_and_b32_e32 v40, 0x7fffff, v16
	v_or_b32_e32 v24, 0x7e, v2
	v_cmp_ne_u64_e32 vcc, s[36:37], v[22:23]
	s_and_saveexec_b64 s[18:19], vcc
	s_xor_b64 s[46:47], exec, s[18:19]
	s_cbranch_execz .LBB4_224
; %bb.215:                              ;   in Loop: Header=BB4_114 Depth=3
	v_and_b32_e32 v22, 0x7fffffff, v16
	v_mov_b32_e32 v23, v41
	v_cmp_gt_u64_e32 vcc, s[38:39], v[22:23]
	s_and_saveexec_b64 s[48:49], vcc
	s_cbranch_execz .LBB4_223
; %bb.216:                              ;   in Loop: Header=BB4_114 Depth=3
	v_cmp_ne_u32_e32 vcc, 0, v16
	v_mov_b32_e32 v24, 0
	s_and_saveexec_b64 s[50:51], vcc
	s_cbranch_execz .LBB4_222
; %bb.217:                              ;   in Loop: Header=BB4_114 Depth=3
	v_bfe_u32 v16, v16, 23, 8
	v_sub_u32_e32 v22, 0x79, v16
	v_cmp_gt_u32_e32 vcc, s63, v16
	v_cndmask_b32_e32 v22, 0, v22, vcc
	v_cmp_eq_u32_e32 vcc, 0, v16
	v_or_b32_e32 v23, 0x800000, v40
	v_cndmask_b32_e32 v25, v22, v30, vcc
	v_add_u32_e32 v17, 0xffffff81, v16
	v_cndmask_b32_e32 v40, v23, v40, vcc
	v_add_u32_e32 v16, 20, v25
	v_cndmask_b32_e32 v24, v17, v47, vcc
	v_lshlrev_b64 v[16:17], v16, -1
	v_lshrrev_b64 v[36:37], v25, v[40:41]
	v_not_b32_e32 v17, v17
	v_not_b32_e32 v16, v16
	v_add_u32_e32 v22, 19, v25
	v_lshrrev_b32_e32 v26, 23, v36
	v_and_b32_e32 v17, 0, v17
	v_and_b32_e32 v16, v40, v16
	v_lshlrev_b64 v[22:23], v22, 1
	v_add3_u32 v26, v25, v24, v26
	v_bfe_u32 v24, v36, 20, 1
	v_add_u32_e32 v24, -1, v24
	v_cmp_eq_u64_e32 vcc, v[16:17], v[22:23]
	v_cndmask_b32_e32 v16, 0, v24, vcc
	v_add_u32_e32 v16, v16, v36
	v_and_b32_e32 v16, 0xfffff, v16
	v_add_co_u32_e32 v16, vcc, v16, v36
	v_add_u32_e32 v25, 6, v26
	v_addc_co_u32_e32 v17, vcc, 0, v37, vcc
	v_cmp_ne_u32_e32 vcc, 0, v25
                                        ; implicit-def: $vgpr24
	s_and_saveexec_b64 s[18:19], vcc
	s_xor_b64 s[18:19], exec, s[18:19]
; %bb.218:                              ;   in Loop: Header=BB4_114 Depth=3
	v_add_u32_e32 v22, 7, v26
	v_cmp_lt_u64_e32 vcc, s[40:41], v[16:17]
	v_cndmask_b32_e32 v24, v25, v22, vcc
	v_cndmask_b32_e64 v22, 0, 1, vcc
	v_lshrrev_b64 v[16:17], v22, v[16:17]
; %bb.219:                              ;   in Loop: Header=BB4_114 Depth=3
	s_andn2_saveexec_b64 s[18:19], s[18:19]
; %bb.220:                              ;   in Loop: Header=BB4_114 Depth=3
	v_bfe_u32 v24, v16, 23, 1
; %bb.221:                              ;   in Loop: Header=BB4_114 Depth=3
	s_or_b64 exec, exec, s[18:19]
	v_lshrrev_b64 v[16:17], 20, v[16:17]
	v_cmp_gt_i32_e32 vcc, 16, v24
	v_cndmask_b32_e32 v17, 0, v17, vcc
	v_cndmask_b32_e32 v16, 7, v16, vcc
	v_cmp_eq_u64_e64 s[18:19], 0, v[16:17]
	v_min_i32_e32 v17, 15, v24
	v_cmp_eq_u32_e32 vcc, 0, v24
	v_lshlrev_b32_e32 v17, 3, v17
	v_and_or_b32 v16, v16, 7, v17
	s_and_b64 s[18:19], vcc, s[18:19]
	v_cndmask_b32_e64 v16, v16, 0, s[18:19]
	v_or_b32_e32 v24, v16, v2
.LBB4_222:                              ;   in Loop: Header=BB4_114 Depth=3
	s_or_b64 exec, exec, s[50:51]
.LBB4_223:                              ;   in Loop: Header=BB4_114 Depth=3
	s_or_b64 exec, exec, s[48:49]
                                        ; implicit-def: $vgpr16
.LBB4_224:                              ;   in Loop: Header=BB4_114 Depth=3
	s_andn2_saveexec_b64 s[18:19], s[46:47]
; %bb.225:                              ;   in Loop: Header=BB4_114 Depth=3
	v_or_b32_sdwa v2, v16, s62 dst_sel:DWORD dst_unused:UNUSED_PAD src0_sel:BYTE_3 src1_sel:DWORD
	v_cmp_eq_u64_e32 vcc, 0, v[40:41]
	v_cndmask_b32_e32 v24, v2, v24, vcc
; %bb.226:                              ;   in Loop: Header=BB4_114 Depth=3
	s_or_b64 exec, exec, s[18:19]
	v_cmp_ne_u16_sdwa vcc, v18, v41 src0_sel:BYTE_0 src1_sel:DWORD
	v_mov_b32_e32 v2, 0
	v_mov_b32_e32 v16, 0
	s_and_saveexec_b64 s[18:19], vcc
	s_cbranch_execz .LBB4_232
; %bb.227:                              ;   in Loop: Header=BB4_114 Depth=3
	v_cmp_ne_u16_sdwa vcc, v18, s61 src0_sel:BYTE_0 src1_sel:DWORD
	v_bfrev_b32_e32 v16, 1
	s_and_saveexec_b64 s[46:47], vcc
	s_cbranch_execz .LBB4_231
; %bb.228:                              ;   in Loop: Header=BB4_114 Depth=3
	v_and_b32_e32 v17, 0x7f, v18
	v_cmp_ne_u32_e32 vcc, s62, v17
	v_mov_b32_e32 v16, 0x7f800001
	s_and_saveexec_b64 s[48:49], vcc
	s_cbranch_execz .LBB4_230
; %bb.229:                              ;   in Loop: Header=BB4_114 Depth=3
	v_and_b32_e32 v16, 7, v18
	v_ffbh_u32_e32 v16, v16
	v_min_u32_e32 v16, 32, v16
	v_lshrrev_b32_e32 v22, 3, v17
	v_subrev_u32_e32 v23, 28, v16
	v_sub_u32_e32 v16, 29, v16
	v_cmp_gt_u32_e32 vcc, 8, v17
	v_cndmask_b32_e32 v22, v22, v16, vcc
	v_cndmask_b32_e32 v16, 0, v23, vcc
	v_lshlrev_b64 v[16:17], v16, v[18:19]
	v_lshlrev_b32_e32 v16, 20, v16
	v_lshlrev_b32_e32 v17, 24, v18
	v_and_b32_e32 v16, 0x700000, v16
	v_and_b32_e32 v17, 0x80000000, v17
	v_lshl_add_u32 v19, v22, 23, v46
	v_or3_b32 v16, v17, v19, v16
.LBB4_230:                              ;   in Loop: Header=BB4_114 Depth=3
	s_or_b64 exec, exec, s[48:49]
.LBB4_231:                              ;   in Loop: Header=BB4_114 Depth=3
	s_or_b64 exec, exec, s[46:47]
.LBB4_232:                              ;   in Loop: Header=BB4_114 Depth=3
	s_or_b64 exec, exec, s[18:19]
	v_alignbit_b32 v40, v60, v61, v62
	v_cmp_ne_u16_sdwa vcc, v40, v41 src0_sel:BYTE_0 src1_sel:DWORD
	s_and_saveexec_b64 s[18:19], vcc
	s_cbranch_execz .LBB4_238
; %bb.233:                              ;   in Loop: Header=BB4_114 Depth=3
	v_cmp_ne_u16_sdwa vcc, v40, s61 src0_sel:BYTE_0 src1_sel:DWORD
	v_bfrev_b32_e32 v2, 1
	s_and_saveexec_b64 s[46:47], vcc
	s_cbranch_execz .LBB4_237
; %bb.234:                              ;   in Loop: Header=BB4_114 Depth=3
	v_and_b32_e32 v17, 0x7f, v40
	v_cmp_ne_u32_e32 vcc, s62, v17
	v_mov_b32_e32 v2, 0x7f800001
	s_and_saveexec_b64 s[48:49], vcc
	s_cbranch_execz .LBB4_236
; %bb.235:                              ;   in Loop: Header=BB4_114 Depth=3
	v_and_b32_e32 v2, 7, v40
	v_ffbh_u32_e32 v2, v2
	v_min_u32_e32 v2, 32, v2
	v_subrev_u32_e32 v22, 28, v2
	v_cmp_gt_u32_e32 vcc, 8, v17
	v_lshrrev_b32_e32 v19, 3, v17
	v_cndmask_b32_e32 v17, 0, v22, vcc
	v_sub_u32_e32 v2, 29, v2
	v_lshlrev_b64 v[22:23], v17, v[40:41]
	v_cndmask_b32_e32 v2, v19, v2, vcc
	v_lshlrev_b32_e32 v17, 20, v22
	v_lshlrev_b32_e32 v19, 24, v40
	v_and_b32_e32 v17, 0x700000, v17
	v_and_b32_e32 v19, 0x80000000, v19
	v_lshl_add_u32 v2, v2, 23, v46
	v_or3_b32 v2, v19, v2, v17
.LBB4_236:                              ;   in Loop: Header=BB4_114 Depth=3
	s_or_b64 exec, exec, s[48:49]
.LBB4_237:                              ;   in Loop: Header=BB4_114 Depth=3
	s_or_b64 exec, exec, s[46:47]
.LBB4_238:                              ;   in Loop: Header=BB4_114 Depth=3
	s_or_b64 exec, exec, s[18:19]
	v_mul_f32_e32 v25, v16, v2
	v_and_b32_sdwa v2, v25, s61 dst_sel:DWORD dst_unused:UNUSED_PAD src0_sel:BYTE_3 src1_sel:DWORD
	v_and_b32_e32 v22, 0x7f800000, v25
	v_mov_b32_e32 v23, v41
	v_and_b32_e32 v16, 0x7fffff, v25
	v_mov_b32_e32 v17, v41
	v_or_b32_e32 v19, 0x7e, v2
	v_cmp_ne_u64_e32 vcc, s[36:37], v[22:23]
	s_and_saveexec_b64 s[18:19], vcc
	s_xor_b64 s[46:47], exec, s[18:19]
	s_cbranch_execz .LBB4_248
; %bb.239:                              ;   in Loop: Header=BB4_114 Depth=3
	v_and_b32_e32 v22, 0x7fffffff, v25
	v_mov_b32_e32 v23, v41
	v_cmp_gt_u64_e32 vcc, s[38:39], v[22:23]
	s_and_saveexec_b64 s[48:49], vcc
	s_cbranch_execz .LBB4_247
; %bb.240:                              ;   in Loop: Header=BB4_114 Depth=3
	v_cmp_ne_u32_e32 vcc, 0, v25
	v_mov_b32_e32 v19, 0
	s_and_saveexec_b64 s[50:51], vcc
	s_cbranch_execz .LBB4_246
; %bb.241:                              ;   in Loop: Header=BB4_114 Depth=3
	v_bfe_u32 v19, v25, 23, 8
	v_sub_u32_e32 v23, 0x79, v19
	v_cmp_gt_u32_e32 vcc, s63, v19
	v_cndmask_b32_e32 v23, 0, v23, vcc
	v_cmp_eq_u32_e32 vcc, 0, v19
	v_add_u32_e32 v22, 0xffffff81, v19
	v_cndmask_b32_e32 v26, v23, v30, vcc
	v_cndmask_b32_e32 v19, v22, v47, vcc
	v_add_u32_e32 v22, 20, v26
	v_or_b32_e32 v25, 0x800000, v16
	v_lshlrev_b64 v[22:23], v22, -1
	v_cndmask_b32_e32 v16, v25, v16, vcc
	v_not_b32_e32 v22, v22
	v_and_b32_e32 v22, v16, v22
	v_add_u32_e32 v25, 19, v26
	v_lshrrev_b64 v[16:17], v26, v[16:17]
	v_not_b32_e32 v23, v23
	v_lshlrev_b64 v[36:37], v25, 1
	v_lshrrev_b32_e32 v25, 23, v16
	v_and_b32_e32 v23, 0, v23
	v_add3_u32 v26, v26, v19, v25
	v_bfe_u32 v19, v16, 20, 1
	v_add_u32_e32 v19, -1, v19
	v_cmp_eq_u64_e32 vcc, v[22:23], v[36:37]
	v_cndmask_b32_e32 v19, 0, v19, vcc
	v_add_u32_e32 v19, v19, v16
	v_and_b32_e32 v19, 0xfffff, v19
	v_add_co_u32_e32 v16, vcc, v19, v16
	v_add_u32_e32 v25, 6, v26
	v_addc_co_u32_e32 v17, vcc, 0, v17, vcc
	v_cmp_ne_u32_e32 vcc, 0, v25
                                        ; implicit-def: $vgpr19
	s_and_saveexec_b64 s[18:19], vcc
	s_xor_b64 s[18:19], exec, s[18:19]
; %bb.242:                              ;   in Loop: Header=BB4_114 Depth=3
	v_cmp_lt_u64_e32 vcc, s[40:41], v[16:17]
	v_add_u32_e32 v19, 7, v26
	v_cndmask_b32_e64 v22, 0, 1, vcc
	v_cndmask_b32_e32 v19, v25, v19, vcc
	v_lshrrev_b64 v[16:17], v22, v[16:17]
; %bb.243:                              ;   in Loop: Header=BB4_114 Depth=3
	s_andn2_saveexec_b64 s[18:19], s[18:19]
; %bb.244:                              ;   in Loop: Header=BB4_114 Depth=3
	v_bfe_u32 v19, v16, 23, 1
; %bb.245:                              ;   in Loop: Header=BB4_114 Depth=3
	s_or_b64 exec, exec, s[18:19]
	v_lshrrev_b64 v[16:17], 20, v[16:17]
	v_cmp_gt_i32_e32 vcc, 16, v19
	v_cndmask_b32_e32 v17, 0, v17, vcc
	v_cndmask_b32_e32 v16, 7, v16, vcc
	v_cmp_eq_u64_e64 s[18:19], 0, v[16:17]
	v_min_i32_e32 v17, 15, v19
	v_cmp_eq_u32_e32 vcc, 0, v19
	v_lshlrev_b32_e32 v17, 3, v17
	v_and_or_b32 v16, v16, 7, v17
	s_and_b64 s[18:19], vcc, s[18:19]
	v_cndmask_b32_e64 v16, v16, 0, s[18:19]
	v_or_b32_e32 v19, v16, v2
.LBB4_246:                              ;   in Loop: Header=BB4_114 Depth=3
	s_or_b64 exec, exec, s[50:51]
.LBB4_247:                              ;   in Loop: Header=BB4_114 Depth=3
	s_or_b64 exec, exec, s[48:49]
                                        ; implicit-def: $vgpr25
                                        ; implicit-def: $vgpr16_vgpr17
.LBB4_248:                              ;   in Loop: Header=BB4_114 Depth=3
	s_andn2_saveexec_b64 s[18:19], s[46:47]
; %bb.249:                              ;   in Loop: Header=BB4_114 Depth=3
	v_or_b32_sdwa v2, v25, s62 dst_sel:DWORD dst_unused:UNUSED_PAD src0_sel:BYTE_3 src1_sel:DWORD
	v_cmp_eq_u64_e32 vcc, 0, v[16:17]
	v_cndmask_b32_e32 v19, v2, v19, vcc
; %bb.250:                              ;   in Loop: Header=BB4_114 Depth=3
	s_or_b64 exec, exec, s[18:19]
	v_lshrrev_b16_e32 v2, 8, v18
	v_cmp_ne_u16_e32 vcc, 0, v2
	v_mov_b32_e32 v16, 0
	v_mov_b32_e32 v17, 0
	s_and_saveexec_b64 s[18:19], vcc
	s_cbranch_execz .LBB4_256
; %bb.251:                              ;   in Loop: Header=BB4_114 Depth=3
	v_cmp_ne_u16_e32 vcc, s61, v2
	v_bfrev_b32_e32 v17, 1
	s_and_saveexec_b64 s[46:47], vcc
	s_cbranch_execz .LBB4_255
; %bb.252:                              ;   in Loop: Header=BB4_114 Depth=3
	v_and_b32_e32 v25, 0x7f, v2
	v_cmp_ne_u32_e32 vcc, s62, v25
	v_mov_b32_e32 v17, 0x7f800001
	s_and_saveexec_b64 s[48:49], vcc
	s_cbranch_execz .LBB4_254
; %bb.253:                              ;   in Loop: Header=BB4_114 Depth=3
	v_and_b32_e32 v17, 7, v2
	v_ffbh_u32_e32 v22, v17
	v_min_u32_e32 v27, 32, v22
	v_subrev_u32_e32 v22, 28, v27
	v_lshlrev_b64 v[22:23], v22, v[2:3]
	v_lshrrev_b32_e32 v26, 3, v25
	v_sub_u32_e32 v2, 29, v27
	v_and_b32_e32 v22, 7, v22
	v_cmp_gt_u32_e32 vcc, 8, v25
	v_cndmask_b32_e32 v2, v26, v2, vcc
	v_cndmask_b32_e32 v17, v17, v22, vcc
	v_lshlrev_b32_e32 v22, 16, v18
	v_lshlrev_b32_e32 v17, 20, v17
	v_and_b32_e32 v22, 0x80000000, v22
	v_lshl_add_u32 v2, v2, 23, v46
	v_or3_b32 v17, v22, v2, v17
.LBB4_254:                              ;   in Loop: Header=BB4_114 Depth=3
	s_or_b64 exec, exec, s[48:49]
.LBB4_255:                              ;   in Loop: Header=BB4_114 Depth=3
	s_or_b64 exec, exec, s[46:47]
.LBB4_256:                              ;   in Loop: Header=BB4_114 Depth=3
	s_or_b64 exec, exec, s[18:19]
	v_lshrrev_b16_e32 v2, 8, v40
	v_cmp_ne_u16_e32 vcc, 0, v2
	s_and_saveexec_b64 s[18:19], vcc
	s_cbranch_execz .LBB4_262
; %bb.257:                              ;   in Loop: Header=BB4_114 Depth=3
	v_cmp_ne_u16_e32 vcc, s61, v2
	v_bfrev_b32_e32 v16, 1
	s_and_saveexec_b64 s[46:47], vcc
	s_cbranch_execz .LBB4_261
; %bb.258:                              ;   in Loop: Header=BB4_114 Depth=3
	v_and_b32_e32 v25, 0x7f, v2
	v_cmp_ne_u32_e32 vcc, s62, v25
	v_mov_b32_e32 v16, 0x7f800001
	s_and_saveexec_b64 s[48:49], vcc
	s_cbranch_execz .LBB4_260
; %bb.259:                              ;   in Loop: Header=BB4_114 Depth=3
	v_and_b32_e32 v16, 7, v2
	v_ffbh_u32_e32 v22, v16
	v_min_u32_e32 v27, 32, v22
	v_subrev_u32_e32 v22, 28, v27
	v_lshlrev_b64 v[22:23], v22, v[2:3]
	v_lshrrev_b32_e32 v26, 3, v25
	v_sub_u32_e32 v2, 29, v27
	v_and_b32_e32 v22, 7, v22
	v_cmp_gt_u32_e32 vcc, 8, v25
	v_cndmask_b32_e32 v2, v26, v2, vcc
	v_cndmask_b32_e32 v16, v16, v22, vcc
	v_lshlrev_b32_e32 v22, 16, v40
	v_lshlrev_b32_e32 v16, 20, v16
	v_and_b32_e32 v22, 0x80000000, v22
	v_lshl_add_u32 v2, v2, 23, v46
	v_or3_b32 v16, v22, v2, v16
.LBB4_260:                              ;   in Loop: Header=BB4_114 Depth=3
	s_or_b64 exec, exec, s[48:49]
.LBB4_261:                              ;   in Loop: Header=BB4_114 Depth=3
	s_or_b64 exec, exec, s[46:47]
.LBB4_262:                              ;   in Loop: Header=BB4_114 Depth=3
	s_or_b64 exec, exec, s[18:19]
	v_mul_f32_e32 v60, v17, v16
	v_and_b32_sdwa v2, v60, s61 dst_sel:DWORD dst_unused:UNUSED_PAD src0_sel:BYTE_3 src1_sel:DWORD
	v_and_b32_e32 v22, 0x7f800000, v60
	v_mov_b32_e32 v23, v41
	v_and_b32_e32 v16, 0x7fffff, v60
	v_mov_b32_e32 v17, v41
	v_or_b32_e32 v25, 0x7e, v2
	v_cmp_ne_u64_e32 vcc, s[36:37], v[22:23]
	s_and_saveexec_b64 s[18:19], vcc
	s_xor_b64 s[46:47], exec, s[18:19]
	s_cbranch_execz .LBB4_272
; %bb.263:                              ;   in Loop: Header=BB4_114 Depth=3
	v_and_b32_e32 v22, 0x7fffffff, v60
	v_mov_b32_e32 v23, v41
	v_cmp_gt_u64_e32 vcc, s[38:39], v[22:23]
	s_and_saveexec_b64 s[48:49], vcc
	s_cbranch_execz .LBB4_271
; %bb.264:                              ;   in Loop: Header=BB4_114 Depth=3
	v_cmp_ne_u32_e32 vcc, 0, v60
	v_mov_b32_e32 v25, 0
	s_and_saveexec_b64 s[50:51], vcc
	s_cbranch_execz .LBB4_270
; %bb.265:                              ;   in Loop: Header=BB4_114 Depth=3
	v_bfe_u32 v22, v60, 23, 8
	v_sub_u32_e32 v25, 0x79, v22
	v_cmp_gt_u32_e32 vcc, s63, v22
	v_cndmask_b32_e32 v25, 0, v25, vcc
	v_cmp_eq_u32_e32 vcc, 0, v22
	v_cndmask_b32_e32 v25, v25, v30, vcc
	v_add_u32_e32 v23, 0xffffff81, v22
	v_add_u32_e32 v22, 20, v25
	v_or_b32_e32 v26, 0x800000, v16
	v_cndmask_b32_e32 v27, v23, v47, vcc
	v_lshlrev_b64 v[22:23], v22, -1
	v_cndmask_b32_e32 v16, v26, v16, vcc
	v_not_b32_e32 v22, v22
	v_and_b32_e32 v22, v16, v22
	v_add_u32_e32 v26, 19, v25
	v_lshrrev_b64 v[16:17], v25, v[16:17]
	v_not_b32_e32 v23, v23
	v_lshlrev_b64 v[36:37], v26, 1
	v_lshrrev_b32_e32 v26, 23, v16
	v_and_b32_e32 v23, 0, v23
	v_add3_u32 v26, v25, v27, v26
	v_bfe_u32 v25, v16, 20, 1
	v_add_u32_e32 v25, -1, v25
	v_cmp_eq_u64_e32 vcc, v[22:23], v[36:37]
	v_cndmask_b32_e32 v22, 0, v25, vcc
	v_add_u32_e32 v22, v22, v16
	v_and_b32_e32 v22, 0xfffff, v22
	v_add_co_u32_e32 v16, vcc, v22, v16
	v_add_u32_e32 v60, 6, v26
	v_addc_co_u32_e32 v17, vcc, 0, v17, vcc
	v_cmp_ne_u32_e32 vcc, 0, v60
                                        ; implicit-def: $vgpr25
	s_and_saveexec_b64 s[18:19], vcc
	s_xor_b64 s[18:19], exec, s[18:19]
; %bb.266:                              ;   in Loop: Header=BB4_114 Depth=3
	v_add_u32_e32 v22, 7, v26
	v_cmp_lt_u64_e32 vcc, s[40:41], v[16:17]
	v_cndmask_b32_e32 v25, v60, v22, vcc
	v_cndmask_b32_e64 v22, 0, 1, vcc
	v_lshrrev_b64 v[16:17], v22, v[16:17]
; %bb.267:                              ;   in Loop: Header=BB4_114 Depth=3
	s_andn2_saveexec_b64 s[18:19], s[18:19]
; %bb.268:                              ;   in Loop: Header=BB4_114 Depth=3
	v_bfe_u32 v25, v16, 23, 1
; %bb.269:                              ;   in Loop: Header=BB4_114 Depth=3
	s_or_b64 exec, exec, s[18:19]
	v_lshrrev_b64 v[16:17], 20, v[16:17]
	v_cmp_gt_i32_e32 vcc, 16, v25
	v_cndmask_b32_e32 v17, 0, v17, vcc
	v_cndmask_b32_e32 v16, 7, v16, vcc
	v_cmp_eq_u64_e64 s[18:19], 0, v[16:17]
	v_min_i32_e32 v17, 15, v25
	v_cmp_eq_u32_e32 vcc, 0, v25
	v_lshlrev_b32_e32 v17, 3, v17
	v_and_or_b32 v16, v16, 7, v17
	s_and_b64 s[18:19], vcc, s[18:19]
	v_cndmask_b32_e64 v16, v16, 0, s[18:19]
	v_or_b32_e32 v25, v16, v2
.LBB4_270:                              ;   in Loop: Header=BB4_114 Depth=3
	s_or_b64 exec, exec, s[50:51]
.LBB4_271:                              ;   in Loop: Header=BB4_114 Depth=3
	s_or_b64 exec, exec, s[48:49]
                                        ; implicit-def: $vgpr60
                                        ; implicit-def: $vgpr16_vgpr17
.LBB4_272:                              ;   in Loop: Header=BB4_114 Depth=3
	s_andn2_saveexec_b64 s[18:19], s[46:47]
; %bb.273:                              ;   in Loop: Header=BB4_114 Depth=3
	v_or_b32_sdwa v2, v60, s62 dst_sel:DWORD dst_unused:UNUSED_PAD src0_sel:BYTE_3 src1_sel:DWORD
	v_cmp_eq_u64_e32 vcc, 0, v[16:17]
	v_cndmask_b32_e32 v25, v2, v25, vcc
; %bb.274:                              ;   in Loop: Header=BB4_114 Depth=3
	s_or_b64 exec, exec, s[18:19]
	v_lshrrev_b32_e32 v2, 16, v18
	v_cmp_ne_u16_sdwa vcc, v2, v41 src0_sel:BYTE_0 src1_sel:DWORD
	v_mov_b32_e32 v16, 0
	v_mov_b32_e32 v17, 0
	s_and_saveexec_b64 s[18:19], vcc
	s_cbranch_execz .LBB4_280
; %bb.275:                              ;   in Loop: Header=BB4_114 Depth=3
	v_cmp_ne_u16_sdwa vcc, v2, s61 src0_sel:BYTE_0 src1_sel:DWORD
	v_bfrev_b32_e32 v17, 1
	s_and_saveexec_b64 s[46:47], vcc
	s_cbranch_execz .LBB4_279
; %bb.276:                              ;   in Loop: Header=BB4_114 Depth=3
	v_bfe_u32 v26, v18, 16, 7
	v_cmp_ne_u32_e32 vcc, s62, v26
	v_mov_b32_e32 v17, 0x7f800001
	s_and_saveexec_b64 s[48:49], vcc
	s_cbranch_execz .LBB4_278
; %bb.277:                              ;   in Loop: Header=BB4_114 Depth=3
	v_and_b32_e32 v17, 7, v2
	v_ffbh_u32_e32 v22, v17
	v_min_u32_e32 v36, 32, v22
	v_subrev_u32_e32 v22, 28, v36
	v_lshlrev_b64 v[22:23], v22, v[2:3]
	v_lshrrev_b32_e32 v27, 3, v26
	v_sub_u32_e32 v23, 29, v36
	v_and_b32_e32 v22, 7, v22
	v_cmp_gt_u32_e32 vcc, 8, v26
	v_cndmask_b32_e32 v23, v27, v23, vcc
	v_cndmask_b32_e32 v17, v17, v22, vcc
	v_lshlrev_b32_e32 v2, 24, v2
	v_lshlrev_b32_e32 v17, 20, v17
	v_and_b32_e32 v2, 0x80000000, v2
	v_lshl_add_u32 v22, v23, 23, v46
	v_or3_b32 v17, v2, v22, v17
.LBB4_278:                              ;   in Loop: Header=BB4_114 Depth=3
	s_or_b64 exec, exec, s[48:49]
.LBB4_279:                              ;   in Loop: Header=BB4_114 Depth=3
	s_or_b64 exec, exec, s[46:47]
.LBB4_280:                              ;   in Loop: Header=BB4_114 Depth=3
	s_or_b64 exec, exec, s[18:19]
	v_and_b32_sdwa v26, v40, s60 dst_sel:DWORD dst_unused:UNUSED_PAD src0_sel:WORD_1 src1_sel:DWORD
	v_lshrrev_b32_e32 v2, 16, v40
	v_cmp_ne_u16_e32 vcc, 0, v26
	s_and_saveexec_b64 s[18:19], vcc
	s_cbranch_execz .LBB4_286
; %bb.281:                              ;   in Loop: Header=BB4_114 Depth=3
	v_cmp_ne_u16_e32 vcc, s61, v26
	v_bfrev_b32_e32 v16, 1
	s_and_saveexec_b64 s[46:47], vcc
	s_cbranch_execz .LBB4_285
; %bb.282:                              ;   in Loop: Header=BB4_114 Depth=3
	v_bfe_u32 v26, v40, 16, 7
	v_cmp_ne_u32_e32 vcc, s62, v26
	v_mov_b32_e32 v16, 0x7f800001
	s_and_saveexec_b64 s[48:49], vcc
	s_cbranch_execz .LBB4_284
; %bb.283:                              ;   in Loop: Header=BB4_114 Depth=3
	v_and_b32_e32 v16, 7, v2
	v_ffbh_u32_e32 v22, v16
	v_min_u32_e32 v36, 32, v22
	v_subrev_u32_e32 v22, 28, v36
	v_lshlrev_b64 v[22:23], v22, v[2:3]
	v_lshrrev_b32_e32 v27, 3, v26
	v_sub_u32_e32 v2, 29, v36
	v_and_b32_e32 v22, 7, v22
	v_cmp_gt_u32_e32 vcc, 8, v26
	v_cndmask_b32_e32 v2, v27, v2, vcc
	v_cndmask_b32_e32 v16, v16, v22, vcc
	v_lshlrev_b32_e32 v22, 8, v40
	v_lshlrev_b32_e32 v16, 20, v16
	v_and_b32_e32 v22, 0x80000000, v22
	v_lshl_add_u32 v2, v2, 23, v46
	v_or3_b32 v16, v22, v2, v16
.LBB4_284:                              ;   in Loop: Header=BB4_114 Depth=3
	s_or_b64 exec, exec, s[48:49]
.LBB4_285:                              ;   in Loop: Header=BB4_114 Depth=3
	s_or_b64 exec, exec, s[46:47]
.LBB4_286:                              ;   in Loop: Header=BB4_114 Depth=3
	s_or_b64 exec, exec, s[18:19]
	v_mul_f32_e32 v61, v17, v16
	v_and_b32_sdwa v2, v61, s61 dst_sel:DWORD dst_unused:UNUSED_PAD src0_sel:BYTE_3 src1_sel:DWORD
	v_and_b32_e32 v22, 0x7f800000, v61
	v_mov_b32_e32 v23, v41
	v_and_b32_e32 v16, 0x7fffff, v61
	v_mov_b32_e32 v17, v41
	v_or_b32_e32 v60, 0x7e, v2
	v_cmp_ne_u64_e32 vcc, s[36:37], v[22:23]
	s_and_saveexec_b64 s[18:19], vcc
	s_xor_b64 s[46:47], exec, s[18:19]
	s_cbranch_execz .LBB4_296
; %bb.287:                              ;   in Loop: Header=BB4_114 Depth=3
	v_and_b32_e32 v22, 0x7fffffff, v61
	v_mov_b32_e32 v23, v41
	v_cmp_gt_u64_e32 vcc, s[38:39], v[22:23]
	s_and_saveexec_b64 s[48:49], vcc
	s_cbranch_execz .LBB4_295
; %bb.288:                              ;   in Loop: Header=BB4_114 Depth=3
	v_cmp_ne_u32_e32 vcc, 0, v61
	v_mov_b32_e32 v60, 0
	s_and_saveexec_b64 s[50:51], vcc
	s_cbranch_execz .LBB4_294
; %bb.289:                              ;   in Loop: Header=BB4_114 Depth=3
	v_bfe_u32 v22, v61, 23, 8
	v_sub_u32_e32 v26, 0x79, v22
	v_cmp_gt_u32_e32 vcc, s63, v22
	v_cndmask_b32_e32 v26, 0, v26, vcc
	v_cmp_eq_u32_e32 vcc, 0, v22
	v_cndmask_b32_e32 v26, v26, v30, vcc
	v_add_u32_e32 v23, 0xffffff81, v22
	v_add_u32_e32 v22, 20, v26
	v_or_b32_e32 v27, 0x800000, v16
	v_cndmask_b32_e32 v60, v23, v47, vcc
	v_lshlrev_b64 v[22:23], v22, -1
	v_cndmask_b32_e32 v16, v27, v16, vcc
	v_not_b32_e32 v22, v22
	v_and_b32_e32 v22, v16, v22
	v_add_u32_e32 v27, 19, v26
	v_lshrrev_b64 v[16:17], v26, v[16:17]
	v_not_b32_e32 v23, v23
	v_lshlrev_b64 v[36:37], v27, 1
	v_lshrrev_b32_e32 v27, 23, v16
	v_and_b32_e32 v23, 0, v23
	v_add3_u32 v26, v26, v60, v27
	v_bfe_u32 v27, v16, 20, 1
	v_add_u32_e32 v27, -1, v27
	v_cmp_eq_u64_e32 vcc, v[22:23], v[36:37]
	v_cndmask_b32_e32 v22, 0, v27, vcc
	v_add_u32_e32 v22, v22, v16
	v_and_b32_e32 v22, 0xfffff, v22
	v_add_co_u32_e32 v16, vcc, v22, v16
	v_add_u32_e32 v61, 6, v26
	v_addc_co_u32_e32 v17, vcc, 0, v17, vcc
	v_cmp_ne_u32_e32 vcc, 0, v61
                                        ; implicit-def: $vgpr60
	s_and_saveexec_b64 s[18:19], vcc
	s_xor_b64 s[18:19], exec, s[18:19]
; %bb.290:                              ;   in Loop: Header=BB4_114 Depth=3
	v_add_u32_e32 v22, 7, v26
	v_cmp_lt_u64_e32 vcc, s[40:41], v[16:17]
	v_cndmask_b32_e32 v60, v61, v22, vcc
	v_cndmask_b32_e64 v22, 0, 1, vcc
	v_lshrrev_b64 v[16:17], v22, v[16:17]
; %bb.291:                              ;   in Loop: Header=BB4_114 Depth=3
	s_andn2_saveexec_b64 s[18:19], s[18:19]
; %bb.292:                              ;   in Loop: Header=BB4_114 Depth=3
	v_bfe_u32 v60, v16, 23, 1
; %bb.293:                              ;   in Loop: Header=BB4_114 Depth=3
	s_or_b64 exec, exec, s[18:19]
	v_lshrrev_b64 v[16:17], 20, v[16:17]
	v_cmp_gt_i32_e32 vcc, 16, v60
	v_cndmask_b32_e32 v17, 0, v17, vcc
	v_cndmask_b32_e32 v16, 7, v16, vcc
	v_cmp_eq_u64_e64 s[18:19], 0, v[16:17]
	v_min_i32_e32 v17, 15, v60
	v_lshlrev_b32_e32 v17, 3, v17
	v_cmp_eq_u32_e32 vcc, 0, v60
	v_and_b32_e32 v17, 0xf8, v17
	v_and_or_b32 v16, v16, 7, v17
	s_and_b64 s[18:19], vcc, s[18:19]
	v_cndmask_b32_e64 v16, v16, 0, s[18:19]
	v_or_b32_e32 v60, v16, v2
.LBB4_294:                              ;   in Loop: Header=BB4_114 Depth=3
	s_or_b64 exec, exec, s[50:51]
.LBB4_295:                              ;   in Loop: Header=BB4_114 Depth=3
	s_or_b64 exec, exec, s[48:49]
                                        ; implicit-def: $vgpr61
                                        ; implicit-def: $vgpr16_vgpr17
.LBB4_296:                              ;   in Loop: Header=BB4_114 Depth=3
	s_andn2_saveexec_b64 s[18:19], s[46:47]
; %bb.297:                              ;   in Loop: Header=BB4_114 Depth=3
	v_or_b32_sdwa v2, v61, s62 dst_sel:DWORD dst_unused:UNUSED_PAD src0_sel:BYTE_3 src1_sel:DWORD
	v_cmp_eq_u64_e32 vcc, 0, v[16:17]
	v_cndmask_b32_e32 v60, v2, v60, vcc
; %bb.298:                              ;   in Loop: Header=BB4_114 Depth=3
	s_or_b64 exec, exec, s[18:19]
	v_and_b32_e32 v16, 0xff000000, v18
	v_mov_b32_e32 v17, v41
	v_cmp_ne_u64_e32 vcc, 0, v[16:17]
	v_mov_b32_e32 v16, 0
	v_mov_b32_e32 v17, 0
	s_and_saveexec_b64 s[18:19], vcc
	s_cbranch_execz .LBB4_304
; %bb.299:                              ;   in Loop: Header=BB4_114 Depth=3
	v_lshrrev_b32_e32 v2, 24, v18
	v_cmp_ne_u32_e32 vcc, s61, v2
	v_bfrev_b32_e32 v17, 1
	s_and_saveexec_b64 s[46:47], vcc
	s_cbranch_execz .LBB4_303
; %bb.300:                              ;   in Loop: Header=BB4_114 Depth=3
	v_bfe_u32 v18, v18, 24, 7
	v_cmp_ne_u32_e32 vcc, s62, v18
	v_mov_b32_e32 v17, 0x7f800001
	s_and_saveexec_b64 s[48:49], vcc
	s_cbranch_execz .LBB4_302
; %bb.301:                              ;   in Loop: Header=BB4_114 Depth=3
	v_and_b32_e32 v17, 7, v2
	v_ffbh_u32_e32 v22, v17
	v_min_u32_e32 v27, 32, v22
	v_subrev_u32_e32 v22, 28, v27
	v_lshlrev_b64 v[22:23], v22, v[2:3]
	v_lshrrev_b32_e32 v26, 3, v18
	v_sub_u32_e32 v23, 29, v27
	v_and_b32_e32 v22, 7, v22
	v_cmp_gt_u32_e32 vcc, 8, v18
	v_cndmask_b32_e32 v18, v26, v23, vcc
	v_cndmask_b32_e32 v17, v17, v22, vcc
	v_lshlrev_b32_e32 v2, 24, v2
	v_lshlrev_b32_e32 v17, 20, v17
	v_and_b32_e32 v2, 0x80000000, v2
	v_lshl_add_u32 v18, v18, 23, v46
	v_or3_b32 v17, v2, v18, v17
.LBB4_302:                              ;   in Loop: Header=BB4_114 Depth=3
	s_or_b64 exec, exec, s[48:49]
.LBB4_303:                              ;   in Loop: Header=BB4_114 Depth=3
	s_or_b64 exec, exec, s[46:47]
.LBB4_304:                              ;   in Loop: Header=BB4_114 Depth=3
	s_or_b64 exec, exec, s[18:19]
	v_cmp_lt_u32_e32 vcc, s64, v40
	s_and_saveexec_b64 s[18:19], vcc
	s_cbranch_execz .LBB4_310
; %bb.305:                              ;   in Loop: Header=BB4_114 Depth=3
	v_lshrrev_b32_e32 v2, 24, v40
	v_cmp_ne_u32_sdwa vcc, v40, s61 src0_sel:BYTE_3 src1_sel:DWORD
	v_bfrev_b32_e32 v16, 1
	s_and_saveexec_b64 s[46:47], vcc
	s_cbranch_execz .LBB4_309
; %bb.306:                              ;   in Loop: Header=BB4_114 Depth=3
	v_bfe_u32 v18, v40, 24, 7
	v_cmp_ne_u32_e32 vcc, s62, v18
	v_mov_b32_e32 v16, 0x7f800001
	s_and_saveexec_b64 s[48:49], vcc
	s_cbranch_execz .LBB4_308
; %bb.307:                              ;   in Loop: Header=BB4_114 Depth=3
	v_and_b32_e32 v16, 7, v2
	v_ffbh_u32_e32 v22, v16
	v_min_u32_e32 v27, 32, v22
	v_subrev_u32_e32 v22, 28, v27
	v_lshlrev_b64 v[22:23], v22, v[2:3]
	v_lshrrev_b32_e32 v26, 3, v18
	v_sub_u32_e32 v2, 29, v27
	v_and_b32_e32 v22, 7, v22
	v_cmp_gt_u32_e32 vcc, 8, v18
	v_cndmask_b32_e32 v2, v26, v2, vcc
	v_cndmask_b32_e32 v16, v16, v22, vcc
	v_lshlrev_b32_sdwa v18, v6, v40 dst_sel:DWORD dst_unused:UNUSED_PAD src0_sel:DWORD src1_sel:BYTE_3
	v_lshlrev_b32_e32 v16, 20, v16
	v_and_b32_e32 v18, 0x80000000, v18
	v_lshl_add_u32 v2, v2, 23, v46
	v_or3_b32 v16, v18, v2, v16
.LBB4_308:                              ;   in Loop: Header=BB4_114 Depth=3
	s_or_b64 exec, exec, s[48:49]
.LBB4_309:                              ;   in Loop: Header=BB4_114 Depth=3
	s_or_b64 exec, exec, s[46:47]
.LBB4_310:                              ;   in Loop: Header=BB4_114 Depth=3
	s_or_b64 exec, exec, s[18:19]
	v_mul_f32_e32 v17, v17, v16
	v_and_b32_sdwa v2, v17, s61 dst_sel:DWORD dst_unused:UNUSED_PAD src0_sel:BYTE_3 src1_sel:DWORD
	v_and_b32_e32 v22, 0x7f800000, v17
	v_mov_b32_e32 v23, v41
	v_and_b32_e32 v40, 0x7fffff, v17
	v_or_b32_e32 v16, 0x7e, v2
	v_cmp_ne_u64_e32 vcc, s[36:37], v[22:23]
	s_and_saveexec_b64 s[18:19], vcc
	s_xor_b64 s[46:47], exec, s[18:19]
	s_cbranch_execz .LBB4_320
; %bb.311:                              ;   in Loop: Header=BB4_114 Depth=3
	v_and_b32_e32 v22, 0x7fffffff, v17
	v_mov_b32_e32 v23, v41
	v_cmp_gt_u64_e32 vcc, s[38:39], v[22:23]
	s_and_saveexec_b64 s[48:49], vcc
	s_cbranch_execz .LBB4_319
; %bb.312:                              ;   in Loop: Header=BB4_114 Depth=3
	v_cmp_ne_u32_e32 vcc, 0, v17
	v_mov_b32_e32 v16, 0
	s_and_saveexec_b64 s[50:51], vcc
	s_cbranch_execz .LBB4_318
; %bb.313:                              ;   in Loop: Header=BB4_114 Depth=3
	v_bfe_u32 v16, v17, 23, 8
	v_sub_u32_e32 v18, 0x79, v16
	v_cmp_gt_u32_e32 vcc, s63, v16
	v_cndmask_b32_e32 v18, 0, v18, vcc
	v_cmp_eq_u32_e32 vcc, 0, v16
	v_or_b32_e32 v22, 0x800000, v40
	v_cndmask_b32_e32 v18, v18, v30, vcc
	v_add_u32_e32 v17, 0xffffff81, v16
	v_cndmask_b32_e32 v40, v22, v40, vcc
	v_add_u32_e32 v16, 20, v18
	v_cndmask_b32_e32 v26, v17, v47, vcc
	v_lshlrev_b64 v[16:17], v16, -1
	v_lshrrev_b64 v[36:37], v18, v[40:41]
	v_not_b32_e32 v17, v17
	v_not_b32_e32 v16, v16
	v_add_u32_e32 v22, 19, v18
	v_lshrrev_b32_e32 v27, 23, v36
	v_and_b32_e32 v17, 0, v17
	v_and_b32_e32 v16, v40, v16
	v_lshlrev_b64 v[22:23], v22, 1
	v_add3_u32 v26, v18, v26, v27
	v_bfe_u32 v18, v36, 20, 1
	v_add_u32_e32 v18, -1, v18
	v_cmp_eq_u64_e32 vcc, v[16:17], v[22:23]
	v_cndmask_b32_e32 v16, 0, v18, vcc
	v_add_u32_e32 v16, v16, v36
	v_and_b32_e32 v16, 0xfffff, v16
	v_add_co_u32_e32 v16, vcc, v16, v36
	v_add_u32_e32 v40, 6, v26
	v_addc_co_u32_e32 v17, vcc, 0, v37, vcc
	v_cmp_ne_u32_e32 vcc, 0, v40
                                        ; implicit-def: $vgpr18
	s_and_saveexec_b64 s[18:19], vcc
	s_xor_b64 s[18:19], exec, s[18:19]
; %bb.314:                              ;   in Loop: Header=BB4_114 Depth=3
	v_cmp_lt_u64_e32 vcc, s[40:41], v[16:17]
	v_add_u32_e32 v18, 7, v26
	v_cndmask_b32_e64 v22, 0, 1, vcc
	v_cndmask_b32_e32 v18, v40, v18, vcc
	v_lshrrev_b64 v[16:17], v22, v[16:17]
; %bb.315:                              ;   in Loop: Header=BB4_114 Depth=3
	s_andn2_saveexec_b64 s[18:19], s[18:19]
; %bb.316:                              ;   in Loop: Header=BB4_114 Depth=3
	v_bfe_u32 v18, v16, 23, 1
; %bb.317:                              ;   in Loop: Header=BB4_114 Depth=3
	s_or_b64 exec, exec, s[18:19]
	v_lshrrev_b64 v[16:17], 20, v[16:17]
	v_cmp_gt_i32_e32 vcc, 16, v18
	v_cndmask_b32_e32 v17, 0, v17, vcc
	v_cndmask_b32_e32 v16, 7, v16, vcc
	v_cmp_eq_u64_e64 s[18:19], 0, v[16:17]
	v_min_i32_e32 v17, 15, v18
	v_lshlrev_b32_e32 v17, 3, v17
	v_cmp_eq_u32_e32 vcc, 0, v18
	v_and_b32_e32 v17, 0xf8, v17
	v_and_or_b32 v16, v16, 7, v17
	s_and_b64 s[18:19], vcc, s[18:19]
	v_cndmask_b32_e64 v16, v16, 0, s[18:19]
	v_or_b32_e32 v16, v16, v2
.LBB4_318:                              ;   in Loop: Header=BB4_114 Depth=3
	s_or_b64 exec, exec, s[50:51]
.LBB4_319:                              ;   in Loop: Header=BB4_114 Depth=3
	s_or_b64 exec, exec, s[48:49]
                                        ; implicit-def: $vgpr17
.LBB4_320:                              ;   in Loop: Header=BB4_114 Depth=3
	s_andn2_saveexec_b64 s[18:19], s[46:47]
	s_cbranch_execz .LBB4_113
; %bb.321:                              ;   in Loop: Header=BB4_114 Depth=3
	v_or_b32_sdwa v2, v17, s62 dst_sel:DWORD dst_unused:UNUSED_PAD src0_sel:BYTE_3 src1_sel:DWORD
	v_cmp_eq_u64_e32 vcc, 0, v[40:41]
	v_cndmask_b32_e32 v16, v2, v16, vcc
	s_branch .LBB4_113
.LBB4_322:                              ;   in Loop: Header=BB4_70 Depth=2
	s_or_b64 exec, exec, s[44:45]
	s_or_b64 exec, exec, s[42:43]
	s_and_saveexec_b64 s[18:19], s[10:11]
	s_cbranch_execz .LBB4_74
.LBB4_323:                              ;   in Loop: Header=BB4_70 Depth=2
	s_and_saveexec_b64 vcc, s[28:29]
	s_xor_b64 s[42:43], exec, vcc
	s_cbranch_execz .LBB4_338
; %bb.324:                              ;   in Loop: Header=BB4_70 Depth=2
	s_and_saveexec_b64 s[44:45], s[12:13]
	s_cbranch_execz .LBB4_337
; %bb.325:                              ;   in Loop: Header=BB4_70 Depth=2
	s_mov_b64 s[48:49], exec
	v_mbcnt_lo_u32_b32 v1, s48, 0
	v_mbcnt_hi_u32_b32 v1, s49, v1
	v_cmp_eq_u32_e32 vcc, 0, v1
	s_waitcnt vmcnt(0) lgkmcnt(0)
	buffer_wbinvl1_vol
	s_and_saveexec_b64 s[46:47], vcc
	s_cbranch_execz .LBB4_327
; %bb.326:                              ;   in Loop: Header=BB4_70 Depth=2
	s_bcnt1_i32_b64 vcc_lo, s[48:49]
	v_mov_b32_e32 v40, vcc_lo
	ds_add_u64 v0, v[40:41]
	s_trap 2
.LBB4_327:                              ;   in Loop: Header=BB4_70 Depth=2
	s_or_b64 exec, exec, s[46:47]
	s_trap 2
	ds_read_b64 v[2:3], v0
	v_accvgpr_read_b32 v4, a26
	v_add_co_u32_e32 v42, vcc, v42, v4
	v_accvgpr_read_b32 v1, a27
	v_addc_co_u32_e32 v43, vcc, v43, v1, vcc
	s_waitcnt lgkmcnt(0)
	v_cmp_lt_u64_e32 vcc, v[2:3], v[42:43]
	s_and_saveexec_b64 s[46:47], vcc
	s_cbranch_execz .LBB4_336
; %bb.328:                              ;   in Loop: Header=BB4_70 Depth=2
	s_mov_b32 s70, 0
	s_mov_b64 s[48:49], 0
                                        ; implicit-def: $sgpr50_sgpr51
                                        ; implicit-def: $sgpr52_sgpr53
	s_branch .LBB4_330
.LBB4_329:                              ;   in Loop: Header=BB4_330 Depth=3
	s_or_b64 exec, exec, s[56:57]
	s_and_b64 vcc, exec, vcc
	s_or_b64 s[48:49], vcc, s[48:49]
	s_andn2_b64 vcc, s[50:51], exec
	s_and_b64 s[50:51], s[52:53], exec
	s_or_b64 s[50:51], vcc, s[50:51]
	s_andn2_b64 exec, exec, s[48:49]
	s_cbranch_execz .LBB4_334
.LBB4_330:                              ;   Parent Loop BB4_21 Depth=1
                                        ;     Parent Loop BB4_70 Depth=2
                                        ; =>    This Inner Loop Header: Depth=3
	s_add_i32 s70, s70, 1
	s_cmpk_lg_i32 s70, 0x2710
	s_cselect_b64 s[54:55], -1, 0
	s_and_b64 vcc, exec, s[54:55]
                                        ; implicit-def: $sgpr56_sgpr57
	s_cbranch_vccnz .LBB4_332
; %bb.331:                              ;   in Loop: Header=BB4_330 Depth=3
	s_trap 2
	ds_read_b64 v[2:3], v0
	s_andn2_b64 s[54:55], s[54:55], exec
	s_mov_b32 s70, 0
	s_mov_b64 s[56:57], -1
	s_waitcnt lgkmcnt(0)
	flat_load_dword v1, v[2:3] glc
	s_waitcnt vmcnt(0) lgkmcnt(0)
	buffer_invl2
	buffer_wbinvl1_vol
	v_cmp_eq_u32_e32 vcc, 0, v1
	s_and_b64 vcc, vcc, exec
	s_or_b64 s[54:55], s[54:55], vcc
.LBB4_332:                              ;   in Loop: Header=BB4_330 Depth=3
	s_andn2_b64 s[52:53], s[52:53], exec
	s_and_b64 s[56:57], s[56:57], exec
	s_mov_b64 vcc, -1
	s_or_b64 s[52:53], s[52:53], s[56:57]
	s_and_saveexec_b64 s[56:57], s[54:55]
	s_cbranch_execz .LBB4_329
; %bb.333:                              ;   in Loop: Header=BB4_330 Depth=3
	s_sleep 1
	s_trap 2
	ds_read_b64 v[2:3], v0
	s_andn2_b64 s[52:53], s[52:53], exec
	s_waitcnt lgkmcnt(0)
	v_cmp_ge_u64_e32 vcc, v[2:3], v[42:43]
	s_orn2_b64 vcc, vcc, exec
	s_branch .LBB4_329
.LBB4_334:                              ;   in Loop: Header=BB4_70 Depth=2
	s_or_b64 exec, exec, s[48:49]
	s_and_saveexec_b64 vcc, s[50:51]
	s_xor_b64 vcc, exec, vcc
	s_cbranch_execz .LBB4_336
; %bb.335:                              ;   in Loop: Header=BB4_70 Depth=2
	v_mov_b32_e32 v1, 1
	ds_write_b32 v0, v1
	s_trap 2
.LBB4_336:                              ;   in Loop: Header=BB4_70 Depth=2
	s_or_b64 exec, exec, s[46:47]
	;;#ASMSTART
	s_wakeup
	;;#ASMEND
.LBB4_337:                              ;   in Loop: Header=BB4_70 Depth=2
	s_or_b64 exec, exec, s[44:45]
.LBB4_338:                              ;   in Loop: Header=BB4_70 Depth=2
	s_andn2_saveexec_b64 vcc, s[42:43]
	s_cbranch_execz .LBB4_340
; %bb.339:                              ;   in Loop: Header=BB4_70 Depth=2
	s_waitcnt vmcnt(0) lgkmcnt(0)
	buffer_wbinvl1_vol
	s_barrier
.LBB4_340:                              ;   in Loop: Header=BB4_70 Depth=2
	s_or_b64 exec, exec, vcc
	s_or_b64 exec, exec, s[18:19]
	s_and_saveexec_b64 s[18:19], s[14:15]
	s_cbranch_execnz .LBB4_75
	s_branch .LBB4_76
.LBB4_341:                              ;   in Loop: Header=BB4_21 Depth=1
	v_accvgpr_write_b32 a43, v1
	v_accvgpr_write_b32 a42, v2
	v_pk_mov_b32 v[16:17], v[28:29], v[28:29] op_sel:[0,1]
	s_branch .LBB4_343
.LBB4_342:                              ;   in Loop: Header=BB4_21 Depth=1
	v_accvgpr_read_b32 v37, a9
	v_accvgpr_read_b32 v55, a41
	v_pk_mov_b32 v[16:17], v[28:29], v[28:29] op_sel:[0,1]
	v_accvgpr_read_b32 v36, a8
	v_accvgpr_read_b32 v54, a40
.LBB4_343:                              ;   in Loop: Header=BB4_21 Depth=1
	v_accvgpr_read_b32 v29, a36
	v_accvgpr_read_b32 v4, a42
	;; [unrolled: 1-line block ×3, first 2 shown]
; %bb.344:                              ;   in Loop: Header=BB4_21 Depth=1
	s_and_saveexec_b64 s[18:19], s[16:17]
	s_cbranch_execz .LBB4_574
; %bb.345:                              ;   in Loop: Header=BB4_21 Depth=1
	v_accvgpr_read_b32 v0, a4
	v_accvgpr_read_b32 v1, a5
	flat_load_dword v8, v[0:1]
	s_waitcnt vmcnt(0) lgkmcnt(0)
	v_accvgpr_read_b32 v2, a10
	v_accvgpr_read_b32 v3, a11
	v_add_co_u32_e32 v2, vcc, v2, v4
	v_addc_co_u32_e32 v3, vcc, v3, v5, vcc
	v_accvgpr_read_b32 v0, a32
	v_add_co_u32_e32 v0, vcc, v0, v4
	v_and_b32_e32 v4, 7, v34
	v_accvgpr_read_b32 v1, a33
	v_mul_lo_u32 v4, v4, s58
	v_addc_co_u32_e32 v1, vcc, v1, v5, vcc
	v_ashrrev_i32_e32 v5, 31, v4
	v_lshlrev_b64 v[4:5], 4, v[4:5]
	v_accvgpr_read_b32 v10, a16
	v_accvgpr_read_b32 v11, a17
	v_add_co_u32_e32 v25, vcc, v10, v4
	v_addc_co_u32_e32 v28, vcc, v11, v5, vcc
	v_accvgpr_read_b32 v5, a23
	v_accvgpr_read_b32 v9, a22
	v_add_u32_e32 v24, 1, v34
	s_mov_b64 s[42:43], 0
	v_mov_b32_e32 v26, v44
	v_ashrrev_i32_e32 v4, 31, v8
	v_mul_lo_u32 v5, v5, v8
	v_mad_u64_u32 v[2:3], s[16:17], v9, v8, v[2:3]
	v_mul_lo_u32 v4, v9, v4
	v_add3_u32 v3, v5, v3, v4
	v_accvgpr_read_b32 v4, a28
	v_add_co_u32_e32 v18, vcc, v2, v4
	v_accvgpr_read_b32 v5, a29
	v_addc_co_u32_e32 v19, vcc, v3, v5, vcc
	s_branch .LBB4_347
.LBB4_346:                              ;   in Loop: Header=BB4_347 Depth=2
	v_add_co_u32_e32 v18, vcc, v18, v56
	v_addc_co_u32_e32 v19, vcc, v19, v45, vcc
	v_add_co_u32_e32 v0, vcc, v0, v56
	v_addc_co_u32_e32 v1, vcc, v1, v45, vcc
	v_sub_u32_e32 v21, v21, v56
	v_cmp_gt_i32_e32 vcc, 1, v21
	s_or_b64 s[42:43], vcc, s[42:43]
	v_add_u32_e32 v26, v26, v20
	s_andn2_b64 exec, exec, s[42:43]
	s_cbranch_execz .LBB4_573
.LBB4_347:                              ;   Parent Loop BB4_21 Depth=1
                                        ; =>  This Loop Header: Depth=2
                                        ;       Child Loop BB4_355 Depth 3
	v_and_b32_e32 v2, -4, v18
	v_mov_b32_e32 v3, v19
	global_load_dword v8, v[2:3], off glc slc
	v_min_u32_e32 v4, 8, v21
	v_and_b32_e32 v5, 3, v18
	v_add_co_u32_e32 v4, vcc, v5, v4
	v_addc_co_u32_e64 v5, s[16:17], 0, 0, vcc
	v_mov_b32_e32 v29, 0
	v_cmp_lt_u64_e32 vcc, 4, v[4:5]
	v_mov_b32_e32 v31, 0
	s_and_saveexec_b64 s[16:17], vcc
	s_cbranch_execz .LBB4_349
; %bb.348:                              ;   in Loop: Header=BB4_347 Depth=2
	global_load_dword v31, v[2:3], off offset:4 glc slc
.LBB4_349:                              ;   in Loop: Header=BB4_347 Depth=2
	s_or_b64 exec, exec, s[16:17]
	v_cmp_lt_u64_e32 vcc, 8, v[4:5]
	s_and_saveexec_b64 s[16:17], vcc
	s_cbranch_execz .LBB4_351
; %bb.350:                              ;   in Loop: Header=BB4_347 Depth=2
	global_load_dword v29, v[2:3], off offset:8 glc slc
.LBB4_351:                              ;   in Loop: Header=BB4_347 Depth=2
	s_or_b64 exec, exec, s[16:17]
	v_ashrrev_i32_e32 v27, 31, v26
	v_lshlrev_b64 v[2:3], 4, v[26:27]
	v_add_co_u32_e32 v10, vcc, v25, v2
	v_addc_co_u32_e32 v11, vcc, v28, v3, vcc
	global_load_dwordx4 v[2:5], v[10:11], off glc slc
	v_cmp_eq_u32_e32 vcc, 0, v7
	s_and_saveexec_b64 s[44:45], vcc
	s_cbranch_execz .LBB4_363
; %bb.352:                              ;   in Loop: Header=BB4_347 Depth=2
	s_waitcnt vmcnt(0)
	v_cmp_ne_u32_e32 vcc, v24, v3
	v_cmp_ne_u32_e64 s[16:17], v24, v5
	s_or_b64 s[16:17], vcc, s[16:17]
	v_mov_b32_e32 v7, 0
	s_and_saveexec_b64 s[46:47], s[16:17]
	s_cbranch_execz .LBB4_362
; %bb.353:                              ;   in Loop: Header=BB4_347 Depth=2
	s_mov_b32 s52, 1
	s_mov_b64 s[48:49], 0
	v_mov_b32_e32 v7, 0
	s_branch .LBB4_355
.LBB4_354:                              ;   in Loop: Header=BB4_355 Depth=3
	s_or_b64 exec, exec, s[50:51]
	s_and_b64 s[16:17], exec, s[16:17]
	s_or_b64 s[48:49], s[16:17], s[48:49]
	s_andn2_b64 exec, exec, s[48:49]
	s_cbranch_execz .LBB4_361
.LBB4_355:                              ;   Parent Loop BB4_21 Depth=1
                                        ;     Parent Loop BB4_347 Depth=2
                                        ; =>    This Inner Loop Header: Depth=3
	global_load_dwordx4 v[2:5], v[10:11], off glc slc
	s_add_i32 s52, s52, 1
	s_cmpk_lg_i32 s52, 0x2710
	s_cbranch_scc1 .LBB4_359
; %bb.356:                              ;   in Loop: Header=BB4_355 Depth=3
	s_trap 2
	ds_read_b64 v[32:33], v0
	s_waitcnt vmcnt(0) lgkmcnt(0)
	flat_load_dword v9, v[32:33] glc
	s_waitcnt vmcnt(0) lgkmcnt(0)
	buffer_invl2
	buffer_wbinvl1_vol
	v_cmp_ne_u32_e32 vcc, 0, v9
	s_and_saveexec_b64 s[16:17], vcc
	s_cbranch_execz .LBB4_358
; %bb.357:                              ;   in Loop: Header=BB4_355 Depth=3
	v_mov_b32_e32 v7, 1
	ds_write_b32 v0, v9
	s_trap 2
.LBB4_358:                              ;   in Loop: Header=BB4_355 Depth=3
	s_or_b64 exec, exec, s[16:17]
	s_mov_b32 s52, 0
	v_mov_b32_e32 v9, v7
	v_cmp_eq_u32_e32 vcc, 0, v9
	s_mov_b64 s[16:17], -1
	s_and_saveexec_b64 s[50:51], vcc
	s_cbranch_execz .LBB4_354
	s_branch .LBB4_360
.LBB4_359:                              ;   in Loop: Header=BB4_355 Depth=3
	v_mov_b32_e32 v9, 0
	v_cmp_eq_u32_e32 vcc, 0, v9
	s_mov_b64 s[16:17], -1
	s_and_saveexec_b64 s[50:51], vcc
	s_cbranch_execz .LBB4_354
.LBB4_360:                              ;   in Loop: Header=BB4_355 Depth=3
	s_waitcnt vmcnt(0)
	v_cmp_eq_u32_e32 vcc, v24, v3
	v_cmp_eq_u32_e64 s[16:17], v24, v5
	s_and_b64 s[16:17], vcc, s[16:17]
	s_orn2_b64 s[16:17], s[16:17], exec
	s_branch .LBB4_354
.LBB4_361:                              ;   in Loop: Header=BB4_347 Depth=2
	s_or_b64 exec, exec, s[48:49]
.LBB4_362:                              ;   in Loop: Header=BB4_347 Depth=2
	s_or_b64 exec, exec, s[46:47]
.LBB4_363:                              ;   in Loop: Header=BB4_347 Depth=2
	s_or_b64 exec, exec, s[44:45]
	s_waitcnt vmcnt(0)
	v_cmp_ne_u16_sdwa vcc, v2, v41 src0_sel:BYTE_0 src1_sel:DWORD
	v_mov_b32_e32 v9, 0
	v_mov_b32_e32 v10, 0
	s_and_saveexec_b64 s[16:17], vcc
	s_cbranch_execz .LBB4_369
; %bb.364:                              ;   in Loop: Header=BB4_347 Depth=2
	v_cmp_ne_u16_sdwa vcc, v2, s61 src0_sel:BYTE_0 src1_sel:DWORD
	v_bfrev_b32_e32 v10, 1
	s_and_saveexec_b64 s[44:45], vcc
	s_cbranch_execz .LBB4_368
; %bb.365:                              ;   in Loop: Header=BB4_347 Depth=2
	v_and_b32_e32 v11, 0x7f, v2
	v_cmp_ne_u32_e32 vcc, s62, v11
	v_mov_b32_e32 v10, 0x7f800001
	s_and_saveexec_b64 s[46:47], vcc
	s_cbranch_execz .LBB4_367
; %bb.366:                              ;   in Loop: Header=BB4_347 Depth=2
	v_and_b32_e32 v10, 7, v2
	v_ffbh_u32_e32 v10, v10
	v_min_u32_e32 v10, 32, v10
	v_lshrrev_b32_e32 v22, 3, v11
	v_subrev_u32_e32 v23, 28, v10
	v_sub_u32_e32 v10, 29, v10
	v_cmp_gt_u32_e32 vcc, 8, v11
	v_cndmask_b32_e32 v22, v22, v10, vcc
	v_cndmask_b32_e32 v10, 0, v23, vcc
	v_lshlrev_b64 v[10:11], v10, v[2:3]
	v_lshlrev_b32_e32 v3, 20, v10
	v_lshlrev_b32_e32 v10, 24, v2
	v_and_b32_e32 v3, 0x700000, v3
	v_and_b32_e32 v10, 0x80000000, v10
	v_lshl_add_u32 v11, v22, 23, v46
	v_or3_b32 v10, v10, v11, v3
.LBB4_367:                              ;   in Loop: Header=BB4_347 Depth=2
	s_or_b64 exec, exec, s[46:47]
.LBB4_368:                              ;   in Loop: Header=BB4_347 Depth=2
	s_or_b64 exec, exec, s[44:45]
.LBB4_369:                              ;   in Loop: Header=BB4_347 Depth=2
	s_or_b64 exec, exec, s[16:17]
	v_lshlrev_b32_e32 v32, 3, v18
	v_alignbit_b32 v40, v31, v8, v32
	v_cmp_ne_u16_sdwa vcc, v40, v41 src0_sel:BYTE_0 src1_sel:DWORD
	s_and_saveexec_b64 s[16:17], vcc
	s_cbranch_execz .LBB4_375
; %bb.370:                              ;   in Loop: Header=BB4_347 Depth=2
	v_cmp_ne_u16_sdwa vcc, v40, s61 src0_sel:BYTE_0 src1_sel:DWORD
	v_bfrev_b32_e32 v9, 1
	s_and_saveexec_b64 s[44:45], vcc
	s_cbranch_execz .LBB4_374
; %bb.371:                              ;   in Loop: Header=BB4_347 Depth=2
	v_and_b32_e32 v3, 0x7f, v40
	v_cmp_ne_u32_e32 vcc, s62, v3
	v_mov_b32_e32 v9, 0x7f800001
	s_and_saveexec_b64 s[46:47], vcc
	s_cbranch_execz .LBB4_373
; %bb.372:                              ;   in Loop: Header=BB4_347 Depth=2
	v_and_b32_e32 v8, 7, v40
	v_ffbh_u32_e32 v8, v8
	v_min_u32_e32 v8, 32, v8
	v_lshrrev_b32_e32 v9, 3, v3
	v_subrev_u32_e32 v11, 28, v8
	v_sub_u32_e32 v8, 29, v8
	v_cmp_gt_u32_e32 vcc, 8, v3
	v_cndmask_b32_e32 v3, v9, v8, vcc
	v_cndmask_b32_e32 v8, 0, v11, vcc
	v_lshlrev_b64 v[8:9], v8, v[40:41]
	v_lshlrev_b32_e32 v8, 20, v8
	v_lshlrev_b32_e32 v9, 24, v40
	v_and_b32_e32 v8, 0x700000, v8
	v_and_b32_e32 v9, 0x80000000, v9
	v_lshl_add_u32 v3, v3, 23, v46
	v_or3_b32 v9, v9, v3, v8
.LBB4_373:                              ;   in Loop: Header=BB4_347 Depth=2
	s_or_b64 exec, exec, s[46:47]
.LBB4_374:                              ;   in Loop: Header=BB4_347 Depth=2
	s_or_b64 exec, exec, s[44:45]
.LBB4_375:                              ;   in Loop: Header=BB4_347 Depth=2
	s_or_b64 exec, exec, s[16:17]
	v_mul_f32_e32 v9, v10, v9
	v_and_b32_sdwa v3, v9, s61 dst_sel:DWORD dst_unused:UNUSED_PAD src0_sel:BYTE_3 src1_sel:DWORD
	v_and_b32_e32 v48, 0x7f800000, v9
	v_mov_b32_e32 v49, v41
	v_and_b32_e32 v10, 0x7fffff, v9
	v_mov_b32_e32 v11, v41
	v_or_b32_e32 v8, 0x7e, v3
	v_cmp_ne_u64_e32 vcc, s[36:37], v[48:49]
	s_and_saveexec_b64 s[16:17], vcc
	s_xor_b64 s[44:45], exec, s[16:17]
	s_cbranch_execz .LBB4_385
; %bb.376:                              ;   in Loop: Header=BB4_347 Depth=2
	v_and_b32_e32 v48, 0x7fffffff, v9
	v_mov_b32_e32 v49, v41
	v_cmp_gt_u64_e32 vcc, s[38:39], v[48:49]
	s_and_saveexec_b64 s[46:47], vcc
	s_cbranch_execz .LBB4_384
; %bb.377:                              ;   in Loop: Header=BB4_347 Depth=2
	v_cmp_ne_u32_e32 vcc, 0, v9
	v_mov_b32_e32 v8, 0
	s_and_saveexec_b64 s[48:49], vcc
	s_cbranch_execz .LBB4_383
; %bb.378:                              ;   in Loop: Header=BB4_347 Depth=2
	v_bfe_u32 v8, v9, 23, 8
	v_cmp_eq_u32_e32 vcc, 0, v8
	v_add_u32_e32 v9, 0xffffff81, v8
	v_cmp_gt_u32_e64 s[16:17], s63, v8
	v_sub_u32_e32 v8, 0x79, v8
	v_cndmask_b32_e64 v8, 0, v8, s[16:17]
	v_cndmask_b32_e32 v27, v8, v30, vcc
	v_add_u32_e32 v8, 20, v27
	v_or_b32_e32 v22, 0x800000, v10
	v_cndmask_b32_e32 v23, v9, v47, vcc
	v_lshlrev_b64 v[8:9], v8, -1
	v_cndmask_b32_e32 v10, v22, v10, vcc
	v_not_b32_e32 v9, v9
	v_not_b32_e32 v8, v8
	v_add_u32_e32 v22, 19, v27
	v_and_b32_e32 v9, 0, v9
	v_and_b32_e32 v8, v10, v8
	v_lshlrev_b64 v[48:49], v22, 1
	v_lshrrev_b64 v[10:11], v27, v[10:11]
	v_cmp_eq_u64_e32 vcc, v[8:9], v[48:49]
	v_lshrrev_b32_e32 v8, 23, v10
	v_add3_u32 v27, v27, v23, v8
	v_bfe_u32 v8, v10, 20, 1
	v_add_u32_e32 v8, -1, v8
	v_cndmask_b32_e32 v8, 0, v8, vcc
	v_add_u32_e32 v8, v8, v10
	v_and_b32_e32 v8, 0xfffff, v8
	v_add_co_u32_e32 v10, vcc, v8, v10
	v_add_u32_e32 v9, 6, v27
	v_addc_co_u32_e32 v11, vcc, 0, v11, vcc
	v_cmp_ne_u32_e32 vcc, 0, v9
                                        ; implicit-def: $vgpr8
	s_and_saveexec_b64 s[16:17], vcc
	s_xor_b64 s[16:17], exec, s[16:17]
; %bb.379:                              ;   in Loop: Header=BB4_347 Depth=2
	v_add_u32_e32 v8, 7, v27
	v_cmp_lt_u64_e32 vcc, s[40:41], v[10:11]
	v_cndmask_b32_e32 v8, v9, v8, vcc
	v_cndmask_b32_e64 v9, 0, 1, vcc
	v_lshrrev_b64 v[10:11], v9, v[10:11]
; %bb.380:                              ;   in Loop: Header=BB4_347 Depth=2
	s_andn2_saveexec_b64 s[16:17], s[16:17]
; %bb.381:                              ;   in Loop: Header=BB4_347 Depth=2
	v_bfe_u32 v8, v10, 23, 1
; %bb.382:                              ;   in Loop: Header=BB4_347 Depth=2
	s_or_b64 exec, exec, s[16:17]
	v_lshrrev_b64 v[10:11], 20, v[10:11]
	v_cmp_gt_i32_e32 vcc, 16, v8
	v_cndmask_b32_e32 v11, 0, v11, vcc
	v_cndmask_b32_e32 v10, 7, v10, vcc
	v_cmp_eq_u32_e32 vcc, 0, v8
	v_min_i32_e32 v8, 15, v8
	v_cmp_eq_u64_e64 s[16:17], 0, v[10:11]
	v_lshlrev_b32_e32 v8, 3, v8
	v_and_or_b32 v8, v10, 7, v8
	s_and_b64 s[16:17], vcc, s[16:17]
	v_cndmask_b32_e64 v8, v8, 0, s[16:17]
	v_or_b32_e32 v8, v8, v3
.LBB4_383:                              ;   in Loop: Header=BB4_347 Depth=2
	s_or_b64 exec, exec, s[48:49]
.LBB4_384:                              ;   in Loop: Header=BB4_347 Depth=2
	s_or_b64 exec, exec, s[46:47]
                                        ; implicit-def: $vgpr9
                                        ; implicit-def: $vgpr10_vgpr11
.LBB4_385:                              ;   in Loop: Header=BB4_347 Depth=2
	s_andn2_saveexec_b64 s[16:17], s[44:45]
; %bb.386:                              ;   in Loop: Header=BB4_347 Depth=2
	v_or_b32_sdwa v3, v9, s62 dst_sel:DWORD dst_unused:UNUSED_PAD src0_sel:BYTE_3 src1_sel:DWORD
	v_cmp_eq_u64_e32 vcc, 0, v[10:11]
	v_cndmask_b32_e32 v8, v3, v8, vcc
; %bb.387:                              ;   in Loop: Header=BB4_347 Depth=2
	s_or_b64 exec, exec, s[16:17]
	v_lshrrev_b16_e32 v10, 8, v2
	v_cmp_ne_u16_e32 vcc, 0, v10
	v_mov_b32_e32 v3, 0
	v_mov_b32_e32 v9, 0
	s_and_saveexec_b64 s[16:17], vcc
	s_cbranch_execz .LBB4_393
; %bb.388:                              ;   in Loop: Header=BB4_347 Depth=2
	v_cmp_ne_u16_e32 vcc, s61, v10
	v_bfrev_b32_e32 v9, 1
	s_and_saveexec_b64 s[44:45], vcc
	s_cbranch_execz .LBB4_392
; %bb.389:                              ;   in Loop: Header=BB4_347 Depth=2
	v_and_b32_e32 v11, 0x7f, v10
	v_cmp_ne_u32_e32 vcc, s62, v11
	v_mov_b32_e32 v9, 0x7f800001
	s_and_saveexec_b64 s[46:47], vcc
	s_cbranch_execz .LBB4_391
; %bb.390:                              ;   in Loop: Header=BB4_347 Depth=2
	v_and_b32_e32 v9, 7, v10
	v_ffbh_u32_e32 v23, v9
	v_min_u32_e32 v23, 32, v23
	v_subrev_u32_e32 v27, 28, v23
	v_lshlrev_b64 v[48:49], v27, v[10:11]
	v_lshrrev_b32_e32 v22, 3, v11
	v_sub_u32_e32 v10, 29, v23
	v_and_b32_e32 v23, 7, v48
	v_cmp_gt_u32_e32 vcc, 8, v11
	v_cndmask_b32_e32 v10, v22, v10, vcc
	v_cndmask_b32_e32 v9, v9, v23, vcc
	v_lshlrev_b32_e32 v11, 16, v2
	v_lshlrev_b32_e32 v9, 20, v9
	v_and_b32_e32 v11, 0x80000000, v11
	v_lshl_add_u32 v10, v10, 23, v46
	v_or3_b32 v9, v11, v10, v9
.LBB4_391:                              ;   in Loop: Header=BB4_347 Depth=2
	s_or_b64 exec, exec, s[46:47]
.LBB4_392:                              ;   in Loop: Header=BB4_347 Depth=2
	s_or_b64 exec, exec, s[44:45]
.LBB4_393:                              ;   in Loop: Header=BB4_347 Depth=2
	s_or_b64 exec, exec, s[16:17]
	v_lshrrev_b16_e32 v10, 8, v40
	v_cmp_ne_u16_e32 vcc, 0, v10
	s_and_saveexec_b64 s[16:17], vcc
	s_cbranch_execz .LBB4_399
; %bb.394:                              ;   in Loop: Header=BB4_347 Depth=2
	v_cmp_ne_u16_e32 vcc, s61, v10
	v_bfrev_b32_e32 v3, 1
	s_and_saveexec_b64 s[44:45], vcc
	s_cbranch_execz .LBB4_398
; %bb.395:                              ;   in Loop: Header=BB4_347 Depth=2
	v_and_b32_e32 v11, 0x7f, v10
	v_cmp_ne_u32_e32 vcc, s62, v11
	v_mov_b32_e32 v3, 0x7f800001
	s_and_saveexec_b64 s[46:47], vcc
	s_cbranch_execz .LBB4_397
; %bb.396:                              ;   in Loop: Header=BB4_347 Depth=2
	v_and_b32_e32 v3, 7, v10
	v_ffbh_u32_e32 v23, v3
	v_min_u32_e32 v23, 32, v23
	v_subrev_u32_e32 v27, 28, v23
	v_lshlrev_b64 v[48:49], v27, v[10:11]
	v_lshrrev_b32_e32 v22, 3, v11
	v_sub_u32_e32 v10, 29, v23
	v_and_b32_e32 v23, 7, v48
	v_cmp_gt_u32_e32 vcc, 8, v11
	v_cndmask_b32_e32 v10, v22, v10, vcc
	v_cndmask_b32_e32 v3, v3, v23, vcc
	v_lshlrev_b32_e32 v11, 16, v40
	v_lshlrev_b32_e32 v3, 20, v3
	v_and_b32_e32 v11, 0x80000000, v11
	v_lshl_add_u32 v10, v10, 23, v46
	v_or3_b32 v3, v11, v10, v3
.LBB4_397:                              ;   in Loop: Header=BB4_347 Depth=2
	s_or_b64 exec, exec, s[46:47]
.LBB4_398:                              ;   in Loop: Header=BB4_347 Depth=2
	s_or_b64 exec, exec, s[44:45]
.LBB4_399:                              ;   in Loop: Header=BB4_347 Depth=2
	s_or_b64 exec, exec, s[16:17]
	v_mul_f32_e32 v27, v9, v3
	v_and_b32_sdwa v3, v27, s61 dst_sel:DWORD dst_unused:UNUSED_PAD src0_sel:BYTE_3 src1_sel:DWORD
	v_and_b32_e32 v48, 0x7f800000, v27
	v_mov_b32_e32 v49, v41
	v_and_b32_e32 v10, 0x7fffff, v27
	v_mov_b32_e32 v11, v41
	v_or_b32_e32 v9, 0x7e, v3
	v_cmp_ne_u64_e32 vcc, s[36:37], v[48:49]
	s_and_saveexec_b64 s[16:17], vcc
	s_xor_b64 s[44:45], exec, s[16:17]
	s_cbranch_execz .LBB4_409
; %bb.400:                              ;   in Loop: Header=BB4_347 Depth=2
	v_and_b32_e32 v48, 0x7fffffff, v27
	v_mov_b32_e32 v49, v41
	v_cmp_gt_u64_e32 vcc, s[38:39], v[48:49]
	s_and_saveexec_b64 s[46:47], vcc
	s_cbranch_execz .LBB4_408
; %bb.401:                              ;   in Loop: Header=BB4_347 Depth=2
	v_cmp_ne_u32_e32 vcc, 0, v27
	v_mov_b32_e32 v9, 0
	s_and_saveexec_b64 s[48:49], vcc
	s_cbranch_execz .LBB4_407
; %bb.402:                              ;   in Loop: Header=BB4_347 Depth=2
	v_bfe_u32 v9, v27, 23, 8
	v_sub_u32_e32 v23, 0x79, v9
	v_cmp_gt_u32_e32 vcc, s63, v9
	v_add_u32_e32 v22, 0xffffff81, v9
	v_cndmask_b32_e32 v23, 0, v23, vcc
	v_cmp_eq_u32_e32 vcc, 0, v9
	v_cndmask_b32_e32 v9, v22, v47, vcc
	v_cndmask_b32_e32 v22, v23, v30, vcc
	v_add_u32_e32 v23, 20, v22
	v_or_b32_e32 v27, 0x800000, v10
	v_lshlrev_b64 v[48:49], v23, -1
	v_cndmask_b32_e32 v10, v27, v10, vcc
	v_not_b32_e32 v23, v49
	v_not_b32_e32 v27, v48
	v_and_b32_e32 v49, 0, v23
	v_and_b32_e32 v48, v10, v27
	v_add_u32_e32 v23, 19, v22
	v_lshrrev_b64 v[10:11], v22, v[10:11]
	v_lshlrev_b64 v[54:55], v23, 1
	v_lshrrev_b32_e32 v23, 23, v10
	v_add3_u32 v33, v22, v9, v23
	v_bfe_u32 v9, v10, 20, 1
	v_add_u32_e32 v9, -1, v9
	v_cmp_eq_u64_e32 vcc, v[48:49], v[54:55]
	v_cndmask_b32_e32 v9, 0, v9, vcc
	v_add_u32_e32 v9, v9, v10
	v_and_b32_e32 v9, 0xfffff, v9
	v_add_co_u32_e32 v10, vcc, v9, v10
	v_add_u32_e32 v27, 6, v33
	v_addc_co_u32_e32 v11, vcc, 0, v11, vcc
	v_cmp_ne_u32_e32 vcc, 0, v27
                                        ; implicit-def: $vgpr9
	s_and_saveexec_b64 s[16:17], vcc
	s_xor_b64 s[16:17], exec, s[16:17]
; %bb.403:                              ;   in Loop: Header=BB4_347 Depth=2
	v_cmp_lt_u64_e32 vcc, s[40:41], v[10:11]
	v_add_u32_e32 v9, 7, v33
	v_cndmask_b32_e64 v22, 0, 1, vcc
	v_cndmask_b32_e32 v9, v27, v9, vcc
	v_lshrrev_b64 v[10:11], v22, v[10:11]
; %bb.404:                              ;   in Loop: Header=BB4_347 Depth=2
	s_andn2_saveexec_b64 s[16:17], s[16:17]
; %bb.405:                              ;   in Loop: Header=BB4_347 Depth=2
	v_bfe_u32 v9, v10, 23, 1
; %bb.406:                              ;   in Loop: Header=BB4_347 Depth=2
	s_or_b64 exec, exec, s[16:17]
	v_lshrrev_b64 v[10:11], 20, v[10:11]
	v_cmp_gt_i32_e32 vcc, 16, v9
	v_cndmask_b32_e32 v11, 0, v11, vcc
	v_cndmask_b32_e32 v10, 7, v10, vcc
	v_cmp_eq_u32_e32 vcc, 0, v9
	v_min_i32_e32 v9, 15, v9
	v_cmp_eq_u64_e64 s[16:17], 0, v[10:11]
	v_lshlrev_b32_e32 v9, 3, v9
	v_and_or_b32 v9, v10, 7, v9
	s_and_b64 s[16:17], vcc, s[16:17]
	v_cndmask_b32_e64 v9, v9, 0, s[16:17]
	v_accvgpr_read_b32 v37, a9
	v_accvgpr_read_b32 v55, a41
	v_or_b32_e32 v9, v9, v3
	v_accvgpr_read_b32 v36, a8
	v_accvgpr_read_b32 v54, a40
.LBB4_407:                              ;   in Loop: Header=BB4_347 Depth=2
	s_or_b64 exec, exec, s[48:49]
.LBB4_408:                              ;   in Loop: Header=BB4_347 Depth=2
	s_or_b64 exec, exec, s[46:47]
                                        ; implicit-def: $vgpr27
                                        ; implicit-def: $vgpr10_vgpr11
.LBB4_409:                              ;   in Loop: Header=BB4_347 Depth=2
	s_andn2_saveexec_b64 s[16:17], s[44:45]
; %bb.410:                              ;   in Loop: Header=BB4_347 Depth=2
	v_or_b32_sdwa v3, v27, s62 dst_sel:DWORD dst_unused:UNUSED_PAD src0_sel:BYTE_3 src1_sel:DWORD
	v_cmp_eq_u64_e32 vcc, 0, v[10:11]
	v_cndmask_b32_e32 v9, v3, v9, vcc
; %bb.411:                              ;   in Loop: Header=BB4_347 Depth=2
	s_or_b64 exec, exec, s[16:17]
	v_lshrrev_b32_e32 v10, 16, v2
	v_cmp_ne_u16_sdwa vcc, v10, v41 src0_sel:BYTE_0 src1_sel:DWORD
	v_mov_b32_e32 v3, 0
	v_mov_b32_e32 v11, 0
	s_and_saveexec_b64 s[16:17], vcc
	s_cbranch_execz .LBB4_417
; %bb.412:                              ;   in Loop: Header=BB4_347 Depth=2
	v_cmp_ne_u16_sdwa vcc, v10, s61 src0_sel:BYTE_0 src1_sel:DWORD
	v_bfrev_b32_e32 v11, 1
	s_and_saveexec_b64 s[44:45], vcc
	s_cbranch_execz .LBB4_416
; %bb.413:                              ;   in Loop: Header=BB4_347 Depth=2
	v_bfe_u32 v27, v2, 16, 7
	v_cmp_ne_u32_e32 vcc, s62, v27
	v_mov_b32_e32 v11, 0x7f800001
	s_and_saveexec_b64 s[46:47], vcc
	s_cbranch_execz .LBB4_415
; %bb.414:                              ;   in Loop: Header=BB4_347 Depth=2
	v_and_b32_e32 v11, 7, v10
	v_ffbh_u32_e32 v23, v11
	v_min_u32_e32 v23, 32, v23
	v_subrev_u32_e32 v33, 28, v23
	v_lshlrev_b64 v[48:49], v33, v[10:11]
	v_lshrrev_b32_e32 v22, 3, v27
	v_sub_u32_e32 v23, 29, v23
	v_and_b32_e32 v33, 7, v48
	v_cmp_gt_u32_e32 vcc, 8, v27
	v_cndmask_b32_e32 v22, v22, v23, vcc
	v_cndmask_b32_e32 v11, v11, v33, vcc
	v_lshlrev_b32_e32 v10, 24, v10
	v_lshlrev_b32_e32 v11, 20, v11
	v_and_b32_e32 v10, 0x80000000, v10
	v_lshl_add_u32 v22, v22, 23, v46
	v_or3_b32 v11, v10, v22, v11
.LBB4_415:                              ;   in Loop: Header=BB4_347 Depth=2
	s_or_b64 exec, exec, s[46:47]
.LBB4_416:                              ;   in Loop: Header=BB4_347 Depth=2
	s_or_b64 exec, exec, s[44:45]
.LBB4_417:                              ;   in Loop: Header=BB4_347 Depth=2
	s_or_b64 exec, exec, s[16:17]
	v_and_b32_sdwa v27, v40, s60 dst_sel:DWORD dst_unused:UNUSED_PAD src0_sel:WORD_1 src1_sel:DWORD
	v_lshrrev_b32_e32 v10, 16, v40
	v_cmp_ne_u16_e32 vcc, 0, v27
	s_and_saveexec_b64 s[16:17], vcc
	s_cbranch_execz .LBB4_423
; %bb.418:                              ;   in Loop: Header=BB4_347 Depth=2
	v_cmp_ne_u16_e32 vcc, s61, v27
	v_bfrev_b32_e32 v3, 1
	s_and_saveexec_b64 s[44:45], vcc
	s_cbranch_execz .LBB4_422
; %bb.419:                              ;   in Loop: Header=BB4_347 Depth=2
	v_bfe_u32 v27, v40, 16, 7
	v_cmp_ne_u32_e32 vcc, s62, v27
	v_mov_b32_e32 v3, 0x7f800001
	s_and_saveexec_b64 s[46:47], vcc
	s_cbranch_execz .LBB4_421
; %bb.420:                              ;   in Loop: Header=BB4_347 Depth=2
	v_and_b32_e32 v3, 7, v10
	v_ffbh_u32_e32 v23, v3
	v_min_u32_e32 v23, 32, v23
	v_subrev_u32_e32 v33, 28, v23
	v_lshlrev_b64 v[48:49], v33, v[10:11]
	v_lshrrev_b32_e32 v22, 3, v27
	v_sub_u32_e32 v10, 29, v23
	v_and_b32_e32 v23, 7, v48
	v_cmp_gt_u32_e32 vcc, 8, v27
	v_cndmask_b32_e32 v10, v22, v10, vcc
	v_cndmask_b32_e32 v3, v3, v23, vcc
	v_lshlrev_b32_e32 v22, 8, v40
	v_lshlrev_b32_e32 v3, 20, v3
	v_and_b32_e32 v22, 0x80000000, v22
	v_lshl_add_u32 v10, v10, 23, v46
	v_or3_b32 v3, v22, v10, v3
.LBB4_421:                              ;   in Loop: Header=BB4_347 Depth=2
	s_or_b64 exec, exec, s[46:47]
.LBB4_422:                              ;   in Loop: Header=BB4_347 Depth=2
	s_or_b64 exec, exec, s[44:45]
.LBB4_423:                              ;   in Loop: Header=BB4_347 Depth=2
	s_or_b64 exec, exec, s[16:17]
	v_mul_f32_e32 v33, v11, v3
	v_and_b32_sdwa v3, v33, s61 dst_sel:DWORD dst_unused:UNUSED_PAD src0_sel:BYTE_3 src1_sel:DWORD
	v_and_b32_e32 v48, 0x7f800000, v33
	v_mov_b32_e32 v49, v41
	v_and_b32_e32 v10, 0x7fffff, v33
	v_mov_b32_e32 v11, v41
	v_or_b32_e32 v27, 0x7e, v3
	v_cmp_ne_u64_e32 vcc, s[36:37], v[48:49]
	s_and_saveexec_b64 s[16:17], vcc
	s_xor_b64 s[44:45], exec, s[16:17]
	s_cbranch_execz .LBB4_433
; %bb.424:                              ;   in Loop: Header=BB4_347 Depth=2
	v_and_b32_e32 v48, 0x7fffffff, v33
	v_mov_b32_e32 v49, v41
	v_cmp_gt_u64_e32 vcc, s[38:39], v[48:49]
	s_and_saveexec_b64 s[46:47], vcc
	s_cbranch_execz .LBB4_432
; %bb.425:                              ;   in Loop: Header=BB4_347 Depth=2
	v_cmp_ne_u32_e32 vcc, 0, v33
	v_mov_b32_e32 v27, 0
	s_and_saveexec_b64 s[48:49], vcc
	s_cbranch_execz .LBB4_431
; %bb.426:                              ;   in Loop: Header=BB4_347 Depth=2
	v_bfe_u32 v22, v33, 23, 8
	v_sub_u32_e32 v27, 0x79, v22
	v_cmp_gt_u32_e32 vcc, s63, v22
	v_add_u32_e32 v23, 0xffffff81, v22
	v_cndmask_b32_e32 v27, 0, v27, vcc
	v_cmp_eq_u32_e32 vcc, 0, v22
	v_cndmask_b32_e32 v22, v23, v47, vcc
	v_cndmask_b32_e32 v23, v27, v30, vcc
	v_add_u32_e32 v27, 20, v23
	v_or_b32_e32 v33, 0x800000, v10
	v_lshlrev_b64 v[48:49], v27, -1
	v_cndmask_b32_e32 v10, v33, v10, vcc
	v_not_b32_e32 v27, v49
	v_not_b32_e32 v33, v48
	v_and_b32_e32 v55, 0, v27
	v_and_b32_e32 v54, v10, v33
	v_add_u32_e32 v27, 19, v23
	v_lshrrev_b64 v[10:11], v23, v[10:11]
	v_lshlrev_b64 v[60:61], v27, 1
	v_lshrrev_b32_e32 v27, 23, v10
	v_add3_u32 v48, v23, v22, v27
	v_bfe_u32 v22, v10, 20, 1
	v_add_u32_e32 v22, -1, v22
	v_cmp_eq_u64_e32 vcc, v[54:55], v[60:61]
	v_cndmask_b32_e32 v22, 0, v22, vcc
	v_add_u32_e32 v22, v22, v10
	v_and_b32_e32 v22, 0xfffff, v22
	v_add_co_u32_e32 v10, vcc, v22, v10
	v_add_u32_e32 v33, 6, v48
	v_addc_co_u32_e32 v11, vcc, 0, v11, vcc
	v_cmp_ne_u32_e32 vcc, 0, v33
                                        ; implicit-def: $vgpr27
	s_and_saveexec_b64 s[16:17], vcc
	s_xor_b64 s[16:17], exec, s[16:17]
; %bb.427:                              ;   in Loop: Header=BB4_347 Depth=2
	v_add_u32_e32 v22, 7, v48
	v_cmp_lt_u64_e32 vcc, s[40:41], v[10:11]
	v_cndmask_b32_e32 v27, v33, v22, vcc
	v_cndmask_b32_e64 v22, 0, 1, vcc
	v_lshrrev_b64 v[10:11], v22, v[10:11]
; %bb.428:                              ;   in Loop: Header=BB4_347 Depth=2
	s_andn2_saveexec_b64 s[16:17], s[16:17]
; %bb.429:                              ;   in Loop: Header=BB4_347 Depth=2
	v_bfe_u32 v27, v10, 23, 1
; %bb.430:                              ;   in Loop: Header=BB4_347 Depth=2
	s_or_b64 exec, exec, s[16:17]
	v_lshrrev_b64 v[10:11], 20, v[10:11]
	v_cmp_gt_i32_e32 vcc, 16, v27
	v_cndmask_b32_e32 v11, 0, v11, vcc
	v_cndmask_b32_e32 v10, 7, v10, vcc
	v_cmp_eq_u64_e64 s[16:17], 0, v[10:11]
	v_min_i32_e32 v11, 15, v27
	v_cmp_eq_u32_e32 vcc, 0, v27
	v_lshlrev_b32_e32 v11, 3, v11
	v_and_or_b32 v10, v10, 7, v11
	s_and_b64 s[16:17], vcc, s[16:17]
	v_cndmask_b32_e64 v10, v10, 0, s[16:17]
	v_accvgpr_read_b32 v37, a9
	v_accvgpr_read_b32 v55, a41
	v_or_b32_e32 v27, v10, v3
	v_accvgpr_read_b32 v36, a8
	v_accvgpr_read_b32 v54, a40
.LBB4_431:                              ;   in Loop: Header=BB4_347 Depth=2
	s_or_b64 exec, exec, s[48:49]
.LBB4_432:                              ;   in Loop: Header=BB4_347 Depth=2
	s_or_b64 exec, exec, s[46:47]
                                        ; implicit-def: $vgpr33
                                        ; implicit-def: $vgpr10_vgpr11
.LBB4_433:                              ;   in Loop: Header=BB4_347 Depth=2
	s_andn2_saveexec_b64 s[16:17], s[44:45]
; %bb.434:                              ;   in Loop: Header=BB4_347 Depth=2
	v_or_b32_sdwa v3, v33, s62 dst_sel:DWORD dst_unused:UNUSED_PAD src0_sel:BYTE_3 src1_sel:DWORD
	v_cmp_eq_u64_e32 vcc, 0, v[10:11]
	v_cndmask_b32_e32 v27, v3, v27, vcc
; %bb.435:                              ;   in Loop: Header=BB4_347 Depth=2
	s_or_b64 exec, exec, s[16:17]
	v_cmp_lt_u32_e32 vcc, s64, v2
	v_mov_b32_e32 v3, 0
	v_mov_b32_e32 v11, 0
	s_and_saveexec_b64 s[16:17], vcc
	s_cbranch_execz .LBB4_441
; %bb.436:                              ;   in Loop: Header=BB4_347 Depth=2
	v_lshrrev_b32_e32 v10, 24, v2
	v_cmp_ne_u32_e32 vcc, s61, v10
	v_bfrev_b32_e32 v11, 1
	s_and_saveexec_b64 s[44:45], vcc
	s_cbranch_execz .LBB4_440
; %bb.437:                              ;   in Loop: Header=BB4_347 Depth=2
	v_bfe_u32 v2, v2, 24, 7
	v_cmp_ne_u32_e32 vcc, s62, v2
	v_mov_b32_e32 v11, 0x7f800001
	s_and_saveexec_b64 s[46:47], vcc
	s_cbranch_execz .LBB4_439
; %bb.438:                              ;   in Loop: Header=BB4_347 Depth=2
	v_and_b32_e32 v11, 7, v10
	v_ffbh_u32_e32 v23, v11
	v_min_u32_e32 v23, 32, v23
	v_subrev_u32_e32 v33, 28, v23
	v_lshlrev_b64 v[48:49], v33, v[10:11]
	v_lshrrev_b32_e32 v22, 3, v2
	v_sub_u32_e32 v23, 29, v23
	v_and_b32_e32 v33, 7, v48
	v_cmp_gt_u32_e32 vcc, 8, v2
	v_cndmask_b32_e32 v2, v22, v23, vcc
	v_cndmask_b32_e32 v11, v11, v33, vcc
	v_lshlrev_b32_e32 v10, 24, v10
	v_lshlrev_b32_e32 v11, 20, v11
	v_and_b32_e32 v10, 0x80000000, v10
	v_lshl_add_u32 v2, v2, 23, v46
	v_or3_b32 v11, v10, v2, v11
.LBB4_439:                              ;   in Loop: Header=BB4_347 Depth=2
	s_or_b64 exec, exec, s[46:47]
.LBB4_440:                              ;   in Loop: Header=BB4_347 Depth=2
	s_or_b64 exec, exec, s[44:45]
.LBB4_441:                              ;   in Loop: Header=BB4_347 Depth=2
	s_or_b64 exec, exec, s[16:17]
	v_cmp_lt_u32_e32 vcc, s64, v40
	s_and_saveexec_b64 s[16:17], vcc
	s_cbranch_execz .LBB4_447
; %bb.442:                              ;   in Loop: Header=BB4_347 Depth=2
	v_lshrrev_b32_e32 v2, 24, v40
	v_cmp_ne_u32_sdwa vcc, v40, s61 src0_sel:BYTE_3 src1_sel:DWORD
	v_bfrev_b32_e32 v3, 1
	s_and_saveexec_b64 s[44:45], vcc
	s_cbranch_execz .LBB4_446
; %bb.443:                              ;   in Loop: Header=BB4_347 Depth=2
	v_bfe_u32 v10, v40, 24, 7
	v_cmp_ne_u32_e32 vcc, s62, v10
	v_mov_b32_e32 v3, 0x7f800001
	s_and_saveexec_b64 s[46:47], vcc
	s_cbranch_execz .LBB4_445
; %bb.444:                              ;   in Loop: Header=BB4_347 Depth=2
	v_and_b32_e32 v22, 7, v2
	v_ffbh_u32_e32 v3, v22
	v_min_u32_e32 v33, 32, v3
	v_subrev_u32_e32 v3, 28, v33
	v_lshlrev_b64 v[2:3], v3, v[2:3]
	v_lshrrev_b32_e32 v23, 3, v10
	v_sub_u32_e32 v3, 29, v33
	v_and_b32_e32 v2, 7, v2
	v_cmp_gt_u32_e32 vcc, 8, v10
	v_cndmask_b32_e32 v3, v23, v3, vcc
	v_cndmask_b32_e32 v2, v22, v2, vcc
	v_lshlrev_b32_sdwa v10, v6, v40 dst_sel:DWORD dst_unused:UNUSED_PAD src0_sel:DWORD src1_sel:BYTE_3
	v_lshlrev_b32_e32 v2, 20, v2
	v_and_b32_e32 v10, 0x80000000, v10
	v_lshl_add_u32 v3, v3, 23, v46
	v_or3_b32 v3, v10, v3, v2
.LBB4_445:                              ;   in Loop: Header=BB4_347 Depth=2
	s_or_b64 exec, exec, s[46:47]
.LBB4_446:                              ;   in Loop: Header=BB4_347 Depth=2
	s_or_b64 exec, exec, s[44:45]
.LBB4_447:                              ;   in Loop: Header=BB4_347 Depth=2
	s_or_b64 exec, exec, s[16:17]
	v_mul_f32_e32 v2, v11, v3
	v_and_b32_sdwa v11, v2, s61 dst_sel:DWORD dst_unused:UNUSED_PAD src0_sel:BYTE_3 src1_sel:DWORD
	v_and_b32_e32 v48, 0x7f800000, v2
	v_mov_b32_e32 v49, v41
	v_and_b32_e32 v40, 0x7fffff, v2
	v_or_b32_e32 v10, 0x7e, v11
	v_cmp_ne_u64_e32 vcc, s[36:37], v[48:49]
	s_and_saveexec_b64 s[16:17], vcc
	s_xor_b64 s[44:45], exec, s[16:17]
	s_cbranch_execz .LBB4_457
; %bb.448:                              ;   in Loop: Header=BB4_347 Depth=2
	v_and_b32_e32 v48, 0x7fffffff, v2
	v_mov_b32_e32 v49, v41
	v_cmp_gt_u64_e32 vcc, s[38:39], v[48:49]
	s_and_saveexec_b64 s[46:47], vcc
	s_cbranch_execz .LBB4_456
; %bb.449:                              ;   in Loop: Header=BB4_347 Depth=2
	v_cmp_ne_u32_e32 vcc, 0, v2
	v_mov_b32_e32 v10, 0
	s_and_saveexec_b64 s[48:49], vcc
	s_cbranch_execz .LBB4_455
; %bb.450:                              ;   in Loop: Header=BB4_347 Depth=2
	v_bfe_u32 v2, v2, 23, 8
	v_sub_u32_e32 v10, 0x79, v2
	v_cmp_gt_u32_e32 vcc, s63, v2
	v_cndmask_b32_e32 v10, 0, v10, vcc
	v_cmp_eq_u32_e32 vcc, 0, v2
	v_or_b32_e32 v22, 0x800000, v40
	v_cndmask_b32_e32 v10, v10, v30, vcc
	v_add_u32_e32 v3, 0xffffff81, v2
	v_cndmask_b32_e32 v40, v22, v40, vcc
	v_add_u32_e32 v2, 20, v10
	v_cndmask_b32_e32 v23, v3, v47, vcc
	v_lshlrev_b64 v[2:3], v2, -1
	v_add_u32_e32 v22, 19, v10
	v_lshrrev_b64 v[60:61], v10, v[40:41]
	v_not_b32_e32 v3, v3
	v_not_b32_e32 v2, v2
	v_lshlrev_b64 v[54:55], v22, 1
	v_lshrrev_b32_e32 v22, 23, v60
	v_and_b32_e32 v3, 0, v3
	v_and_b32_e32 v2, v40, v2
	v_add3_u32 v48, v10, v23, v22
	v_bfe_u32 v10, v60, 20, 1
	v_add_u32_e32 v10, -1, v10
	v_cmp_eq_u64_e32 vcc, v[2:3], v[54:55]
	v_cndmask_b32_e32 v2, 0, v10, vcc
	v_add_u32_e32 v2, v2, v60
	v_and_b32_e32 v2, 0xfffff, v2
	v_add_co_u32_e32 v2, vcc, v2, v60
	v_add_u32_e32 v33, 6, v48
	v_addc_co_u32_e32 v3, vcc, 0, v61, vcc
	v_cmp_ne_u32_e32 vcc, 0, v33
                                        ; implicit-def: $vgpr10
	s_and_saveexec_b64 s[16:17], vcc
	s_xor_b64 s[16:17], exec, s[16:17]
; %bb.451:                              ;   in Loop: Header=BB4_347 Depth=2
	v_cmp_lt_u64_e32 vcc, s[40:41], v[2:3]
	v_add_u32_e32 v10, 7, v48
	v_cndmask_b32_e64 v22, 0, 1, vcc
	v_cndmask_b32_e32 v10, v33, v10, vcc
	v_lshrrev_b64 v[2:3], v22, v[2:3]
; %bb.452:                              ;   in Loop: Header=BB4_347 Depth=2
	s_andn2_saveexec_b64 s[16:17], s[16:17]
; %bb.453:                              ;   in Loop: Header=BB4_347 Depth=2
	v_bfe_u32 v10, v2, 23, 1
; %bb.454:                              ;   in Loop: Header=BB4_347 Depth=2
	s_or_b64 exec, exec, s[16:17]
	v_lshrrev_b64 v[2:3], 20, v[2:3]
	v_cmp_gt_i32_e32 vcc, 16, v10
	v_cndmask_b32_e32 v3, 0, v3, vcc
	v_cndmask_b32_e32 v2, 7, v2, vcc
	v_cmp_eq_u64_e64 s[16:17], 0, v[2:3]
	v_min_i32_e32 v3, 15, v10
	v_cmp_eq_u32_e32 vcc, 0, v10
	v_lshlrev_b32_e32 v3, 3, v3
	v_and_or_b32 v2, v2, 7, v3
	s_and_b64 s[16:17], vcc, s[16:17]
	v_cndmask_b32_e64 v2, v2, 0, s[16:17]
	v_accvgpr_read_b32 v37, a9
	v_accvgpr_read_b32 v55, a41
	v_or_b32_e32 v10, v2, v11
	v_accvgpr_read_b32 v36, a8
	v_accvgpr_read_b32 v54, a40
.LBB4_455:                              ;   in Loop: Header=BB4_347 Depth=2
	s_or_b64 exec, exec, s[48:49]
.LBB4_456:                              ;   in Loop: Header=BB4_347 Depth=2
	s_or_b64 exec, exec, s[46:47]
                                        ; implicit-def: $vgpr2
.LBB4_457:                              ;   in Loop: Header=BB4_347 Depth=2
	s_andn2_saveexec_b64 s[16:17], s[44:45]
; %bb.458:                              ;   in Loop: Header=BB4_347 Depth=2
	v_or_b32_sdwa v2, v2, s62 dst_sel:DWORD dst_unused:UNUSED_PAD src0_sel:BYTE_3 src1_sel:DWORD
	v_cmp_eq_u64_e32 vcc, 0, v[40:41]
	v_cndmask_b32_e32 v10, v2, v10, vcc
; %bb.459:                              ;   in Loop: Header=BB4_347 Depth=2
	s_or_b64 exec, exec, s[16:17]
	v_cmp_ne_u16_sdwa vcc, v4, v41 src0_sel:BYTE_0 src1_sel:DWORD
	v_mov_b32_e32 v2, 0
	v_mov_b32_e32 v3, 0
	s_and_saveexec_b64 s[16:17], vcc
	s_cbranch_execz .LBB4_465
; %bb.460:                              ;   in Loop: Header=BB4_347 Depth=2
	v_cmp_ne_u16_sdwa vcc, v4, s61 src0_sel:BYTE_0 src1_sel:DWORD
	v_bfrev_b32_e32 v3, 1
	s_and_saveexec_b64 s[44:45], vcc
	s_cbranch_execz .LBB4_464
; %bb.461:                              ;   in Loop: Header=BB4_347 Depth=2
	v_and_b32_e32 v11, 0x7f, v4
	v_cmp_ne_u32_e32 vcc, s62, v11
	v_mov_b32_e32 v3, 0x7f800001
	s_and_saveexec_b64 s[46:47], vcc
	s_cbranch_execz .LBB4_463
; %bb.462:                              ;   in Loop: Header=BB4_347 Depth=2
	v_and_b32_e32 v3, 7, v4
	v_ffbh_u32_e32 v3, v3
	v_min_u32_e32 v3, 32, v3
	v_subrev_u32_e32 v23, 28, v3
	v_cmp_gt_u32_e32 vcc, 8, v11
	v_lshrrev_b32_e32 v22, 3, v11
	v_cndmask_b32_e32 v11, 0, v23, vcc
	v_sub_u32_e32 v3, 29, v3
	v_lshlrev_b64 v[48:49], v11, v[4:5]
	v_cndmask_b32_e32 v3, v22, v3, vcc
	v_lshlrev_b32_e32 v5, 20, v48
	v_lshlrev_b32_e32 v11, 24, v4
	v_and_b32_e32 v5, 0x700000, v5
	v_and_b32_e32 v11, 0x80000000, v11
	v_lshl_add_u32 v3, v3, 23, v46
	v_or3_b32 v3, v11, v3, v5
.LBB4_463:                              ;   in Loop: Header=BB4_347 Depth=2
	s_or_b64 exec, exec, s[46:47]
.LBB4_464:                              ;   in Loop: Header=BB4_347 Depth=2
	s_or_b64 exec, exec, s[44:45]
.LBB4_465:                              ;   in Loop: Header=BB4_347 Depth=2
	s_or_b64 exec, exec, s[16:17]
	v_alignbit_b32 v40, v29, v31, v32
	v_cmp_ne_u16_sdwa vcc, v40, v41 src0_sel:BYTE_0 src1_sel:DWORD
	s_and_saveexec_b64 s[16:17], vcc
	s_cbranch_execz .LBB4_471
; %bb.466:                              ;   in Loop: Header=BB4_347 Depth=2
	v_cmp_ne_u16_sdwa vcc, v40, s61 src0_sel:BYTE_0 src1_sel:DWORD
	v_bfrev_b32_e32 v2, 1
	s_and_saveexec_b64 s[44:45], vcc
	s_cbranch_execz .LBB4_470
; %bb.467:                              ;   in Loop: Header=BB4_347 Depth=2
	v_and_b32_e32 v5, 0x7f, v40
	v_cmp_ne_u32_e32 vcc, s62, v5
	v_mov_b32_e32 v2, 0x7f800001
	s_and_saveexec_b64 s[46:47], vcc
	s_cbranch_execz .LBB4_469
; %bb.468:                              ;   in Loop: Header=BB4_347 Depth=2
	v_and_b32_e32 v2, 7, v40
	v_ffbh_u32_e32 v2, v2
	v_min_u32_e32 v2, 32, v2
	v_subrev_u32_e32 v22, 28, v2
	v_cmp_gt_u32_e32 vcc, 8, v5
	v_lshrrev_b32_e32 v11, 3, v5
	v_cndmask_b32_e32 v5, 0, v22, vcc
	v_sub_u32_e32 v2, 29, v2
	v_lshlrev_b64 v[32:33], v5, v[40:41]
	v_cndmask_b32_e32 v2, v11, v2, vcc
	v_lshlrev_b32_e32 v5, 20, v32
	v_lshlrev_b32_e32 v11, 24, v40
	v_and_b32_e32 v5, 0x700000, v5
	v_and_b32_e32 v11, 0x80000000, v11
	v_lshl_add_u32 v2, v2, 23, v46
	v_or3_b32 v2, v11, v2, v5
.LBB4_469:                              ;   in Loop: Header=BB4_347 Depth=2
	s_or_b64 exec, exec, s[46:47]
.LBB4_470:                              ;   in Loop: Header=BB4_347 Depth=2
	s_or_b64 exec, exec, s[44:45]
.LBB4_471:                              ;   in Loop: Header=BB4_347 Depth=2
	s_or_b64 exec, exec, s[16:17]
	v_mul_f32_e32 v29, v3, v2
	v_and_b32_sdwa v11, v29, s61 dst_sel:DWORD dst_unused:UNUSED_PAD src0_sel:BYTE_3 src1_sel:DWORD
	v_and_b32_e32 v32, 0x7f800000, v29
	v_mov_b32_e32 v33, v41
	v_and_b32_e32 v2, 0x7fffff, v29
	v_mov_b32_e32 v3, v41
	v_or_b32_e32 v5, 0x7e, v11
	v_cmp_ne_u64_e32 vcc, s[36:37], v[32:33]
	s_and_saveexec_b64 s[16:17], vcc
	s_xor_b64 s[44:45], exec, s[16:17]
	s_cbranch_execz .LBB4_481
; %bb.472:                              ;   in Loop: Header=BB4_347 Depth=2
	v_and_b32_e32 v32, 0x7fffffff, v29
	v_mov_b32_e32 v33, v41
	v_cmp_gt_u64_e32 vcc, s[38:39], v[32:33]
	s_and_saveexec_b64 s[46:47], vcc
	s_cbranch_execz .LBB4_480
; %bb.473:                              ;   in Loop: Header=BB4_347 Depth=2
	v_cmp_ne_u32_e32 vcc, 0, v29
	v_mov_b32_e32 v5, 0
	s_and_saveexec_b64 s[48:49], vcc
	s_cbranch_execz .LBB4_479
; %bb.474:                              ;   in Loop: Header=BB4_347 Depth=2
	v_bfe_u32 v5, v29, 23, 8
	v_sub_u32_e32 v23, 0x79, v5
	v_cmp_gt_u32_e32 vcc, s63, v5
	v_add_u32_e32 v22, 0xffffff81, v5
	v_cndmask_b32_e32 v23, 0, v23, vcc
	v_cmp_eq_u32_e32 vcc, 0, v5
	v_cndmask_b32_e32 v5, v22, v47, vcc
	v_cndmask_b32_e32 v22, v23, v30, vcc
	v_add_u32_e32 v23, 20, v22
	v_or_b32_e32 v29, 0x800000, v2
	v_lshlrev_b64 v[32:33], v23, -1
	v_cndmask_b32_e32 v2, v29, v2, vcc
	v_not_b32_e32 v23, v33
	v_not_b32_e32 v29, v32
	v_and_b32_e32 v33, 0, v23
	v_and_b32_e32 v32, v2, v29
	v_add_u32_e32 v23, 19, v22
	v_lshrrev_b64 v[2:3], v22, v[2:3]
	v_lshlrev_b64 v[48:49], v23, 1
	v_lshrrev_b32_e32 v23, 23, v2
	v_add3_u32 v31, v22, v5, v23
	v_bfe_u32 v5, v2, 20, 1
	v_add_u32_e32 v5, -1, v5
	v_cmp_eq_u64_e32 vcc, v[32:33], v[48:49]
	v_cndmask_b32_e32 v5, 0, v5, vcc
	v_add_u32_e32 v5, v5, v2
	v_and_b32_e32 v5, 0xfffff, v5
	v_add_co_u32_e32 v2, vcc, v5, v2
	v_add_u32_e32 v29, 6, v31
	v_addc_co_u32_e32 v3, vcc, 0, v3, vcc
	v_cmp_ne_u32_e32 vcc, 0, v29
                                        ; implicit-def: $vgpr5
	s_and_saveexec_b64 s[16:17], vcc
	s_xor_b64 s[16:17], exec, s[16:17]
; %bb.475:                              ;   in Loop: Header=BB4_347 Depth=2
	v_cmp_lt_u64_e32 vcc, s[40:41], v[2:3]
	v_add_u32_e32 v5, 7, v31
	v_cndmask_b32_e64 v22, 0, 1, vcc
	v_cndmask_b32_e32 v5, v29, v5, vcc
	v_lshrrev_b64 v[2:3], v22, v[2:3]
; %bb.476:                              ;   in Loop: Header=BB4_347 Depth=2
	s_andn2_saveexec_b64 s[16:17], s[16:17]
; %bb.477:                              ;   in Loop: Header=BB4_347 Depth=2
	v_bfe_u32 v5, v2, 23, 1
; %bb.478:                              ;   in Loop: Header=BB4_347 Depth=2
	s_or_b64 exec, exec, s[16:17]
	v_lshrrev_b64 v[2:3], 20, v[2:3]
	v_cmp_gt_i32_e32 vcc, 16, v5
	v_cndmask_b32_e32 v3, 0, v3, vcc
	v_cndmask_b32_e32 v2, 7, v2, vcc
	v_cmp_eq_u64_e64 s[16:17], 0, v[2:3]
	v_min_i32_e32 v3, 15, v5
	v_cmp_eq_u32_e32 vcc, 0, v5
	v_lshlrev_b32_e32 v3, 3, v3
	v_and_or_b32 v2, v2, 7, v3
	s_and_b64 s[16:17], vcc, s[16:17]
	v_cndmask_b32_e64 v2, v2, 0, s[16:17]
	v_or_b32_e32 v5, v2, v11
.LBB4_479:                              ;   in Loop: Header=BB4_347 Depth=2
	s_or_b64 exec, exec, s[48:49]
.LBB4_480:                              ;   in Loop: Header=BB4_347 Depth=2
	s_or_b64 exec, exec, s[46:47]
                                        ; implicit-def: $vgpr29
                                        ; implicit-def: $vgpr2_vgpr3
.LBB4_481:                              ;   in Loop: Header=BB4_347 Depth=2
	s_andn2_saveexec_b64 s[16:17], s[44:45]
; %bb.482:                              ;   in Loop: Header=BB4_347 Depth=2
	v_or_b32_sdwa v11, v29, s62 dst_sel:DWORD dst_unused:UNUSED_PAD src0_sel:BYTE_3 src1_sel:DWORD
	v_cmp_eq_u64_e32 vcc, 0, v[2:3]
	v_cndmask_b32_e32 v5, v11, v5, vcc
; %bb.483:                              ;   in Loop: Header=BB4_347 Depth=2
	s_or_b64 exec, exec, s[16:17]
	v_lshrrev_b16_e32 v2, 8, v4
	v_cmp_ne_u16_e32 vcc, 0, v2
	v_mov_b32_e32 v3, 0
	v_mov_b32_e32 v11, 0
	s_and_saveexec_b64 s[16:17], vcc
	s_cbranch_execz .LBB4_489
; %bb.484:                              ;   in Loop: Header=BB4_347 Depth=2
	v_cmp_ne_u16_e32 vcc, s61, v2
	v_bfrev_b32_e32 v11, 1
	s_and_saveexec_b64 s[44:45], vcc
	s_cbranch_execz .LBB4_488
; %bb.485:                              ;   in Loop: Header=BB4_347 Depth=2
	v_and_b32_e32 v29, 0x7f, v2
	v_cmp_ne_u32_e32 vcc, s62, v29
	v_mov_b32_e32 v11, 0x7f800001
	s_and_saveexec_b64 s[46:47], vcc
	s_cbranch_execz .LBB4_487
; %bb.486:                              ;   in Loop: Header=BB4_347 Depth=2
	v_and_b32_e32 v11, 7, v2
	v_ffbh_u32_e32 v23, v11
	v_min_u32_e32 v23, 32, v23
	v_subrev_u32_e32 v31, 28, v23
	v_lshlrev_b64 v[32:33], v31, v[2:3]
	v_lshrrev_b32_e32 v22, 3, v29
	v_sub_u32_e32 v2, 29, v23
	v_and_b32_e32 v23, 7, v32
	v_cmp_gt_u32_e32 vcc, 8, v29
	v_cndmask_b32_e32 v2, v22, v2, vcc
	v_cndmask_b32_e32 v11, v11, v23, vcc
	v_lshlrev_b32_e32 v22, 16, v4
	v_lshlrev_b32_e32 v11, 20, v11
	v_and_b32_e32 v22, 0x80000000, v22
	v_lshl_add_u32 v2, v2, 23, v46
	v_or3_b32 v11, v22, v2, v11
.LBB4_487:                              ;   in Loop: Header=BB4_347 Depth=2
	s_or_b64 exec, exec, s[46:47]
.LBB4_488:                              ;   in Loop: Header=BB4_347 Depth=2
	s_or_b64 exec, exec, s[44:45]
.LBB4_489:                              ;   in Loop: Header=BB4_347 Depth=2
	s_or_b64 exec, exec, s[16:17]
	v_lshrrev_b16_e32 v2, 8, v40
	v_cmp_ne_u16_e32 vcc, 0, v2
	s_and_saveexec_b64 s[16:17], vcc
	s_cbranch_execz .LBB4_495
; %bb.490:                              ;   in Loop: Header=BB4_347 Depth=2
	v_cmp_ne_u16_e32 vcc, s61, v2
	v_bfrev_b32_e32 v3, 1
	s_and_saveexec_b64 s[44:45], vcc
	s_cbranch_execz .LBB4_494
; %bb.491:                              ;   in Loop: Header=BB4_347 Depth=2
	v_and_b32_e32 v29, 0x7f, v2
	v_cmp_ne_u32_e32 vcc, s62, v29
	v_mov_b32_e32 v3, 0x7f800001
	s_and_saveexec_b64 s[46:47], vcc
	s_cbranch_execz .LBB4_493
; %bb.492:                              ;   in Loop: Header=BB4_347 Depth=2
	v_and_b32_e32 v22, 7, v2
	v_ffbh_u32_e32 v3, v22
	v_min_u32_e32 v31, 32, v3
	v_subrev_u32_e32 v3, 28, v31
	v_lshlrev_b64 v[2:3], v3, v[2:3]
	v_lshrrev_b32_e32 v23, 3, v29
	v_sub_u32_e32 v3, 29, v31
	v_and_b32_e32 v2, 7, v2
	v_cmp_gt_u32_e32 vcc, 8, v29
	v_cndmask_b32_e32 v3, v23, v3, vcc
	v_cndmask_b32_e32 v2, v22, v2, vcc
	v_lshlrev_b32_e32 v22, 16, v40
	v_lshlrev_b32_e32 v2, 20, v2
	v_and_b32_e32 v22, 0x80000000, v22
	v_lshl_add_u32 v3, v3, 23, v46
	v_or3_b32 v3, v22, v3, v2
.LBB4_493:                              ;   in Loop: Header=BB4_347 Depth=2
	s_or_b64 exec, exec, s[46:47]
.LBB4_494:                              ;   in Loop: Header=BB4_347 Depth=2
	s_or_b64 exec, exec, s[44:45]
.LBB4_495:                              ;   in Loop: Header=BB4_347 Depth=2
	s_or_b64 exec, exec, s[16:17]
	v_mul_f32_e32 v31, v11, v3
	v_and_b32_sdwa v29, v31, s61 dst_sel:DWORD dst_unused:UNUSED_PAD src0_sel:BYTE_3 src1_sel:DWORD
	v_and_b32_e32 v32, 0x7f800000, v31
	v_mov_b32_e32 v33, v41
	v_and_b32_e32 v2, 0x7fffff, v31
	v_mov_b32_e32 v3, v41
	v_or_b32_e32 v11, 0x7e, v29
	v_cmp_ne_u64_e32 vcc, s[36:37], v[32:33]
	s_and_saveexec_b64 s[16:17], vcc
	s_xor_b64 s[44:45], exec, s[16:17]
	s_cbranch_execz .LBB4_505
; %bb.496:                              ;   in Loop: Header=BB4_347 Depth=2
	v_and_b32_e32 v32, 0x7fffffff, v31
	v_mov_b32_e32 v33, v41
	v_cmp_gt_u64_e32 vcc, s[38:39], v[32:33]
	s_and_saveexec_b64 s[46:47], vcc
	s_cbranch_execz .LBB4_504
; %bb.497:                              ;   in Loop: Header=BB4_347 Depth=2
	v_cmp_ne_u32_e32 vcc, 0, v31
	v_mov_b32_e32 v11, 0
	s_and_saveexec_b64 s[48:49], vcc
	s_cbranch_execz .LBB4_503
; %bb.498:                              ;   in Loop: Header=BB4_347 Depth=2
	v_bfe_u32 v11, v31, 23, 8
	v_sub_u32_e32 v23, 0x79, v11
	v_cmp_gt_u32_e32 vcc, s63, v11
	v_add_u32_e32 v22, 0xffffff81, v11
	v_cndmask_b32_e32 v23, 0, v23, vcc
	v_cmp_eq_u32_e32 vcc, 0, v11
	v_cndmask_b32_e32 v11, v22, v47, vcc
	v_cndmask_b32_e32 v22, v23, v30, vcc
	v_add_u32_e32 v23, 20, v22
	v_or_b32_e32 v31, 0x800000, v2
	v_lshlrev_b64 v[32:33], v23, -1
	v_cndmask_b32_e32 v2, v31, v2, vcc
	v_not_b32_e32 v23, v33
	v_not_b32_e32 v31, v32
	v_and_b32_e32 v49, 0, v23
	v_and_b32_e32 v48, v2, v31
	v_add_u32_e32 v23, 19, v22
	v_lshrrev_b64 v[2:3], v22, v[2:3]
	v_lshlrev_b64 v[54:55], v23, 1
	v_lshrrev_b32_e32 v23, 23, v2
	v_add3_u32 v32, v22, v11, v23
	v_bfe_u32 v11, v2, 20, 1
	v_add_u32_e32 v11, -1, v11
	v_cmp_eq_u64_e32 vcc, v[48:49], v[54:55]
	v_cndmask_b32_e32 v11, 0, v11, vcc
	v_add_u32_e32 v11, v11, v2
	v_and_b32_e32 v11, 0xfffff, v11
	v_add_co_u32_e32 v2, vcc, v11, v2
	v_add_u32_e32 v31, 6, v32
	v_addc_co_u32_e32 v3, vcc, 0, v3, vcc
	v_cmp_ne_u32_e32 vcc, 0, v31
                                        ; implicit-def: $vgpr11
	s_and_saveexec_b64 s[16:17], vcc
	s_xor_b64 s[16:17], exec, s[16:17]
; %bb.499:                              ;   in Loop: Header=BB4_347 Depth=2
	v_cmp_lt_u64_e32 vcc, s[40:41], v[2:3]
	v_add_u32_e32 v11, 7, v32
	v_cndmask_b32_e64 v22, 0, 1, vcc
	v_cndmask_b32_e32 v11, v31, v11, vcc
	v_lshrrev_b64 v[2:3], v22, v[2:3]
; %bb.500:                              ;   in Loop: Header=BB4_347 Depth=2
	s_andn2_saveexec_b64 s[16:17], s[16:17]
; %bb.501:                              ;   in Loop: Header=BB4_347 Depth=2
	v_bfe_u32 v11, v2, 23, 1
; %bb.502:                              ;   in Loop: Header=BB4_347 Depth=2
	s_or_b64 exec, exec, s[16:17]
	v_lshrrev_b64 v[2:3], 20, v[2:3]
	v_cmp_gt_i32_e32 vcc, 16, v11
	v_cndmask_b32_e32 v3, 0, v3, vcc
	v_cndmask_b32_e32 v2, 7, v2, vcc
	v_cmp_eq_u64_e64 s[16:17], 0, v[2:3]
	v_min_i32_e32 v3, 15, v11
	v_cmp_eq_u32_e32 vcc, 0, v11
	v_lshlrev_b32_e32 v3, 3, v3
	v_and_or_b32 v2, v2, 7, v3
	s_and_b64 s[16:17], vcc, s[16:17]
	v_cndmask_b32_e64 v2, v2, 0, s[16:17]
	v_accvgpr_read_b32 v37, a9
	v_accvgpr_read_b32 v55, a41
	v_or_b32_e32 v11, v2, v29
	v_accvgpr_read_b32 v36, a8
	v_accvgpr_read_b32 v54, a40
.LBB4_503:                              ;   in Loop: Header=BB4_347 Depth=2
	s_or_b64 exec, exec, s[48:49]
.LBB4_504:                              ;   in Loop: Header=BB4_347 Depth=2
	s_or_b64 exec, exec, s[46:47]
                                        ; implicit-def: $vgpr31
                                        ; implicit-def: $vgpr2_vgpr3
.LBB4_505:                              ;   in Loop: Header=BB4_347 Depth=2
	s_andn2_saveexec_b64 s[16:17], s[44:45]
; %bb.506:                              ;   in Loop: Header=BB4_347 Depth=2
	v_or_b32_sdwa v22, v31, s62 dst_sel:DWORD dst_unused:UNUSED_PAD src0_sel:BYTE_3 src1_sel:DWORD
	v_cmp_eq_u64_e32 vcc, 0, v[2:3]
	v_cndmask_b32_e32 v11, v22, v11, vcc
; %bb.507:                              ;   in Loop: Header=BB4_347 Depth=2
	s_or_b64 exec, exec, s[16:17]
	v_lshrrev_b32_e32 v2, 16, v4
	v_cmp_ne_u16_sdwa vcc, v2, v41 src0_sel:BYTE_0 src1_sel:DWORD
	v_mov_b32_e32 v3, 0
	v_mov_b32_e32 v29, 0
	s_and_saveexec_b64 s[16:17], vcc
	s_cbranch_execz .LBB4_513
; %bb.508:                              ;   in Loop: Header=BB4_347 Depth=2
	v_cmp_ne_u16_sdwa vcc, v2, s61 src0_sel:BYTE_0 src1_sel:DWORD
	v_bfrev_b32_e32 v29, 1
	s_and_saveexec_b64 s[44:45], vcc
	s_cbranch_execz .LBB4_512
; %bb.509:                              ;   in Loop: Header=BB4_347 Depth=2
	v_bfe_u32 v31, v4, 16, 7
	v_cmp_ne_u32_e32 vcc, s62, v31
	v_mov_b32_e32 v29, 0x7f800001
	s_and_saveexec_b64 s[46:47], vcc
	s_cbranch_execz .LBB4_511
; %bb.510:                              ;   in Loop: Header=BB4_347 Depth=2
	v_and_b32_e32 v22, 7, v2
	v_ffbh_u32_e32 v29, v22
	v_min_u32_e32 v29, 32, v29
	v_subrev_u32_e32 v32, 28, v29
	v_lshlrev_b64 v[32:33], v32, v[2:3]
	v_lshrrev_b32_e32 v23, 3, v31
	v_sub_u32_e32 v29, 29, v29
	v_and_b32_e32 v32, 7, v32
	v_cmp_gt_u32_e32 vcc, 8, v31
	v_cndmask_b32_e32 v23, v23, v29, vcc
	v_cndmask_b32_e32 v22, v22, v32, vcc
	v_lshlrev_b32_e32 v2, 24, v2
	v_lshlrev_b32_e32 v22, 20, v22
	v_and_b32_e32 v2, 0x80000000, v2
	v_lshl_add_u32 v23, v23, 23, v46
	v_or3_b32 v29, v2, v23, v22
.LBB4_511:                              ;   in Loop: Header=BB4_347 Depth=2
	s_or_b64 exec, exec, s[46:47]
.LBB4_512:                              ;   in Loop: Header=BB4_347 Depth=2
	s_or_b64 exec, exec, s[44:45]
.LBB4_513:                              ;   in Loop: Header=BB4_347 Depth=2
	s_or_b64 exec, exec, s[16:17]
	v_and_b32_sdwa v31, v40, s60 dst_sel:DWORD dst_unused:UNUSED_PAD src0_sel:WORD_1 src1_sel:DWORD
	v_lshrrev_b32_e32 v2, 16, v40
	v_cmp_ne_u16_e32 vcc, 0, v31
	s_and_saveexec_b64 s[16:17], vcc
	s_cbranch_execz .LBB4_519
; %bb.514:                              ;   in Loop: Header=BB4_347 Depth=2
	v_cmp_ne_u16_e32 vcc, s61, v31
	v_bfrev_b32_e32 v3, 1
	s_and_saveexec_b64 s[44:45], vcc
	s_cbranch_execz .LBB4_518
; %bb.515:                              ;   in Loop: Header=BB4_347 Depth=2
	v_bfe_u32 v31, v40, 16, 7
	v_cmp_ne_u32_e32 vcc, s62, v31
	v_mov_b32_e32 v3, 0x7f800001
	s_and_saveexec_b64 s[46:47], vcc
	s_cbranch_execz .LBB4_517
; %bb.516:                              ;   in Loop: Header=BB4_347 Depth=2
	v_and_b32_e32 v22, 7, v2
	v_ffbh_u32_e32 v3, v22
	v_min_u32_e32 v32, 32, v3
	v_subrev_u32_e32 v3, 28, v32
	v_lshlrev_b64 v[2:3], v3, v[2:3]
	v_lshrrev_b32_e32 v23, 3, v31
	v_sub_u32_e32 v3, 29, v32
	v_and_b32_e32 v2, 7, v2
	v_cmp_gt_u32_e32 vcc, 8, v31
	v_cndmask_b32_e32 v3, v23, v3, vcc
	v_cndmask_b32_e32 v2, v22, v2, vcc
	v_lshlrev_b32_e32 v22, 8, v40
	v_lshlrev_b32_e32 v2, 20, v2
	v_and_b32_e32 v22, 0x80000000, v22
	v_lshl_add_u32 v3, v3, 23, v46
	v_or3_b32 v3, v22, v3, v2
.LBB4_517:                              ;   in Loop: Header=BB4_347 Depth=2
	s_or_b64 exec, exec, s[46:47]
.LBB4_518:                              ;   in Loop: Header=BB4_347 Depth=2
	s_or_b64 exec, exec, s[44:45]
.LBB4_519:                              ;   in Loop: Header=BB4_347 Depth=2
	s_or_b64 exec, exec, s[16:17]
	v_mul_f32_e32 v32, v29, v3
	v_and_b32_sdwa v31, v32, s61 dst_sel:DWORD dst_unused:UNUSED_PAD src0_sel:BYTE_3 src1_sel:DWORD
	v_and_b32_e32 v48, 0x7f800000, v32
	v_mov_b32_e32 v49, v41
	v_and_b32_e32 v2, 0x7fffff, v32
	v_mov_b32_e32 v3, v41
	v_or_b32_e32 v29, 0x7e, v31
	v_cmp_ne_u64_e32 vcc, s[36:37], v[48:49]
	s_and_saveexec_b64 s[16:17], vcc
	s_xor_b64 s[44:45], exec, s[16:17]
	s_cbranch_execz .LBB4_529
; %bb.520:                              ;   in Loop: Header=BB4_347 Depth=2
	v_and_b32_e32 v48, 0x7fffffff, v32
	v_mov_b32_e32 v49, v41
	v_cmp_gt_u64_e32 vcc, s[38:39], v[48:49]
	s_and_saveexec_b64 s[46:47], vcc
	s_cbranch_execz .LBB4_528
; %bb.521:                              ;   in Loop: Header=BB4_347 Depth=2
	v_cmp_ne_u32_e32 vcc, 0, v32
	v_mov_b32_e32 v29, 0
	s_and_saveexec_b64 s[48:49], vcc
	s_cbranch_execz .LBB4_527
; %bb.522:                              ;   in Loop: Header=BB4_347 Depth=2
	v_bfe_u32 v22, v32, 23, 8
	v_sub_u32_e32 v29, 0x79, v22
	v_cmp_gt_u32_e32 vcc, s63, v22
	v_add_u32_e32 v23, 0xffffff81, v22
	v_cndmask_b32_e32 v29, 0, v29, vcc
	v_cmp_eq_u32_e32 vcc, 0, v22
	v_cndmask_b32_e32 v22, v23, v47, vcc
	v_cndmask_b32_e32 v23, v29, v30, vcc
	v_or_b32_e32 v32, 0x800000, v2
	v_add_u32_e32 v29, 20, v23
	v_cndmask_b32_e32 v2, v32, v2, vcc
	v_lshlrev_b64 v[32:33], v29, -1
	v_not_b32_e32 v29, v33
	v_not_b32_e32 v32, v32
	v_and_b32_e32 v49, 0, v29
	v_and_b32_e32 v48, v2, v32
	v_add_u32_e32 v29, 19, v23
	v_lshrrev_b64 v[2:3], v23, v[2:3]
	v_lshlrev_b64 v[54:55], v29, 1
	v_lshrrev_b32_e32 v29, 23, v2
	v_add3_u32 v33, v23, v22, v29
	v_bfe_u32 v22, v2, 20, 1
	v_add_u32_e32 v22, -1, v22
	v_cmp_eq_u64_e32 vcc, v[48:49], v[54:55]
	v_cndmask_b32_e32 v22, 0, v22, vcc
	v_add_u32_e32 v22, v22, v2
	v_and_b32_e32 v22, 0xfffff, v22
	v_add_co_u32_e32 v2, vcc, v22, v2
	v_add_u32_e32 v32, 6, v33
	v_addc_co_u32_e32 v3, vcc, 0, v3, vcc
	v_cmp_ne_u32_e32 vcc, 0, v32
                                        ; implicit-def: $vgpr29
	s_and_saveexec_b64 s[16:17], vcc
	s_xor_b64 s[16:17], exec, s[16:17]
; %bb.523:                              ;   in Loop: Header=BB4_347 Depth=2
	v_add_u32_e32 v22, 7, v33
	v_cmp_lt_u64_e32 vcc, s[40:41], v[2:3]
	v_cndmask_b32_e32 v29, v32, v22, vcc
	v_cndmask_b32_e64 v22, 0, 1, vcc
	v_lshrrev_b64 v[2:3], v22, v[2:3]
; %bb.524:                              ;   in Loop: Header=BB4_347 Depth=2
	s_andn2_saveexec_b64 s[16:17], s[16:17]
; %bb.525:                              ;   in Loop: Header=BB4_347 Depth=2
	v_bfe_u32 v29, v2, 23, 1
; %bb.526:                              ;   in Loop: Header=BB4_347 Depth=2
	s_or_b64 exec, exec, s[16:17]
	v_lshrrev_b64 v[2:3], 20, v[2:3]
	v_cmp_gt_i32_e32 vcc, 16, v29
	v_cndmask_b32_e32 v3, 0, v3, vcc
	v_cndmask_b32_e32 v2, 7, v2, vcc
	v_cmp_eq_u64_e64 s[16:17], 0, v[2:3]
	v_min_i32_e32 v3, 15, v29
	v_lshlrev_b32_e32 v3, 3, v3
	v_cmp_eq_u32_e32 vcc, 0, v29
	v_and_b32_e32 v3, 0xf8, v3
	v_and_or_b32 v2, v2, 7, v3
	s_and_b64 s[16:17], vcc, s[16:17]
	v_cndmask_b32_e64 v2, v2, 0, s[16:17]
	v_accvgpr_read_b32 v37, a9
	v_accvgpr_read_b32 v55, a41
	v_or_b32_e32 v29, v2, v31
	v_accvgpr_read_b32 v36, a8
	v_accvgpr_read_b32 v54, a40
.LBB4_527:                              ;   in Loop: Header=BB4_347 Depth=2
	s_or_b64 exec, exec, s[48:49]
.LBB4_528:                              ;   in Loop: Header=BB4_347 Depth=2
	s_or_b64 exec, exec, s[46:47]
                                        ; implicit-def: $vgpr32
                                        ; implicit-def: $vgpr2_vgpr3
.LBB4_529:                              ;   in Loop: Header=BB4_347 Depth=2
	s_andn2_saveexec_b64 s[16:17], s[44:45]
; %bb.530:                              ;   in Loop: Header=BB4_347 Depth=2
	v_or_b32_sdwa v22, v32, s62 dst_sel:DWORD dst_unused:UNUSED_PAD src0_sel:BYTE_3 src1_sel:DWORD
	v_cmp_eq_u64_e32 vcc, 0, v[2:3]
	v_cndmask_b32_e32 v29, v22, v29, vcc
; %bb.531:                              ;   in Loop: Header=BB4_347 Depth=2
	s_or_b64 exec, exec, s[16:17]
	v_and_b32_e32 v2, 0xff000000, v4
	v_mov_b32_e32 v3, v41
	v_cmp_ne_u64_e32 vcc, 0, v[2:3]
	v_mov_b32_e32 v3, 0
	v_mov_b32_e32 v31, 0
	s_and_saveexec_b64 s[16:17], vcc
	s_cbranch_execz .LBB4_537
; %bb.532:                              ;   in Loop: Header=BB4_347 Depth=2
	v_lshrrev_b32_e32 v2, 24, v4
	v_cmp_ne_u32_e32 vcc, s61, v2
	v_bfrev_b32_e32 v31, 1
	s_and_saveexec_b64 s[44:45], vcc
	s_cbranch_execz .LBB4_536
; %bb.533:                              ;   in Loop: Header=BB4_347 Depth=2
	v_bfe_u32 v4, v4, 24, 7
	v_cmp_ne_u32_e32 vcc, s62, v4
	v_mov_b32_e32 v31, 0x7f800001
	s_and_saveexec_b64 s[46:47], vcc
	s_cbranch_execz .LBB4_535
; %bb.534:                              ;   in Loop: Header=BB4_347 Depth=2
	v_and_b32_e32 v22, 7, v2
	v_ffbh_u32_e32 v31, v22
	v_min_u32_e32 v31, 32, v31
	v_subrev_u32_e32 v32, 28, v31
	v_lshlrev_b64 v[32:33], v32, v[2:3]
	v_lshrrev_b32_e32 v23, 3, v4
	v_sub_u32_e32 v31, 29, v31
	v_and_b32_e32 v32, 7, v32
	v_cmp_gt_u32_e32 vcc, 8, v4
	v_cndmask_b32_e32 v4, v23, v31, vcc
	v_cndmask_b32_e32 v22, v22, v32, vcc
	v_lshlrev_b32_e32 v2, 24, v2
	v_lshlrev_b32_e32 v22, 20, v22
	v_and_b32_e32 v2, 0x80000000, v2
	v_lshl_add_u32 v4, v4, 23, v46
	v_or3_b32 v31, v2, v4, v22
.LBB4_535:                              ;   in Loop: Header=BB4_347 Depth=2
	s_or_b64 exec, exec, s[46:47]
.LBB4_536:                              ;   in Loop: Header=BB4_347 Depth=2
	s_or_b64 exec, exec, s[44:45]
.LBB4_537:                              ;   in Loop: Header=BB4_347 Depth=2
	s_or_b64 exec, exec, s[16:17]
	v_cmp_lt_u32_e32 vcc, s64, v40
	s_and_saveexec_b64 s[16:17], vcc
	s_cbranch_execz .LBB4_543
; %bb.538:                              ;   in Loop: Header=BB4_347 Depth=2
	v_lshrrev_b32_e32 v2, 24, v40
	v_cmp_ne_u32_sdwa vcc, v40, s61 src0_sel:BYTE_3 src1_sel:DWORD
	v_bfrev_b32_e32 v3, 1
	s_and_saveexec_b64 s[44:45], vcc
	s_cbranch_execz .LBB4_542
; %bb.539:                              ;   in Loop: Header=BB4_347 Depth=2
	v_bfe_u32 v4, v40, 24, 7
	v_cmp_ne_u32_e32 vcc, s62, v4
	v_mov_b32_e32 v3, 0x7f800001
	s_and_saveexec_b64 s[46:47], vcc
	s_cbranch_execz .LBB4_541
; %bb.540:                              ;   in Loop: Header=BB4_347 Depth=2
	v_and_b32_e32 v22, 7, v2
	v_ffbh_u32_e32 v3, v22
	v_min_u32_e32 v32, 32, v3
	v_subrev_u32_e32 v3, 28, v32
	v_lshlrev_b64 v[2:3], v3, v[2:3]
	v_lshrrev_b32_e32 v23, 3, v4
	v_sub_u32_e32 v3, 29, v32
	v_and_b32_e32 v2, 7, v2
	v_cmp_gt_u32_e32 vcc, 8, v4
	v_cndmask_b32_e32 v3, v23, v3, vcc
	v_cndmask_b32_e32 v2, v22, v2, vcc
	v_lshlrev_b32_sdwa v4, v6, v40 dst_sel:DWORD dst_unused:UNUSED_PAD src0_sel:DWORD src1_sel:BYTE_3
	v_lshlrev_b32_e32 v2, 20, v2
	v_and_b32_e32 v4, 0x80000000, v4
	v_lshl_add_u32 v3, v3, 23, v46
	v_or3_b32 v3, v4, v3, v2
.LBB4_541:                              ;   in Loop: Header=BB4_347 Depth=2
	s_or_b64 exec, exec, s[46:47]
.LBB4_542:                              ;   in Loop: Header=BB4_347 Depth=2
	s_or_b64 exec, exec, s[44:45]
.LBB4_543:                              ;   in Loop: Header=BB4_347 Depth=2
	s_or_b64 exec, exec, s[16:17]
	v_mul_f32_e32 v3, v31, v3
	v_and_b32_sdwa v4, v3, s61 dst_sel:DWORD dst_unused:UNUSED_PAD src0_sel:BYTE_3 src1_sel:DWORD
	v_and_b32_e32 v32, 0x7f800000, v3
	v_mov_b32_e32 v33, v41
	v_and_b32_e32 v40, 0x7fffff, v3
	v_or_b32_e32 v2, 0x7e, v4
	v_cmp_ne_u64_e32 vcc, s[36:37], v[32:33]
	s_and_saveexec_b64 s[16:17], vcc
	s_xor_b64 s[44:45], exec, s[16:17]
	s_cbranch_execz .LBB4_553
; %bb.544:                              ;   in Loop: Header=BB4_347 Depth=2
	v_and_b32_e32 v32, 0x7fffffff, v3
	v_mov_b32_e32 v33, v41
	v_cmp_gt_u64_e32 vcc, s[38:39], v[32:33]
	s_and_saveexec_b64 s[46:47], vcc
	s_cbranch_execz .LBB4_552
; %bb.545:                              ;   in Loop: Header=BB4_347 Depth=2
	v_cmp_ne_u32_e32 vcc, 0, v3
	v_mov_b32_e32 v2, 0
	s_and_saveexec_b64 s[48:49], vcc
	s_cbranch_execz .LBB4_551
; %bb.546:                              ;   in Loop: Header=BB4_347 Depth=2
	v_bfe_u32 v2, v3, 23, 8
	v_sub_u32_e32 v22, 0x79, v2
	v_cmp_gt_u32_e32 vcc, s63, v2
	v_cndmask_b32_e32 v22, 0, v22, vcc
	v_cmp_eq_u32_e32 vcc, 0, v2
	v_or_b32_e32 v23, 0x800000, v40
	v_cndmask_b32_e32 v22, v22, v30, vcc
	v_add_u32_e32 v3, 0xffffff81, v2
	v_cndmask_b32_e32 v40, v23, v40, vcc
	v_add_u32_e32 v2, 20, v22
	v_cndmask_b32_e32 v31, v3, v47, vcc
	v_lshlrev_b64 v[2:3], v2, -1
	v_add_u32_e32 v23, 19, v22
	v_lshrrev_b64 v[54:55], v22, v[40:41]
	v_not_b32_e32 v3, v3
	v_not_b32_e32 v2, v2
	v_lshlrev_b64 v[48:49], v23, 1
	v_lshrrev_b32_e32 v23, 23, v54
	v_and_b32_e32 v3, 0, v3
	v_and_b32_e32 v2, v40, v2
	v_add3_u32 v33, v22, v31, v23
	v_bfe_u32 v22, v54, 20, 1
	v_add_u32_e32 v22, -1, v22
	v_cmp_eq_u64_e32 vcc, v[2:3], v[48:49]
	v_cndmask_b32_e32 v2, 0, v22, vcc
	v_add_u32_e32 v2, v2, v54
	v_and_b32_e32 v2, 0xfffff, v2
	v_add_co_u32_e32 v2, vcc, v2, v54
	v_add_u32_e32 v32, 6, v33
	v_addc_co_u32_e32 v3, vcc, 0, v55, vcc
	v_cmp_ne_u32_e32 vcc, 0, v32
                                        ; implicit-def: $vgpr31
	s_and_saveexec_b64 s[16:17], vcc
	s_xor_b64 s[16:17], exec, s[16:17]
; %bb.547:                              ;   in Loop: Header=BB4_347 Depth=2
	v_add_u32_e32 v22, 7, v33
	v_cmp_lt_u64_e32 vcc, s[40:41], v[2:3]
	v_cndmask_b32_e32 v31, v32, v22, vcc
	v_cndmask_b32_e64 v22, 0, 1, vcc
	v_lshrrev_b64 v[2:3], v22, v[2:3]
; %bb.548:                              ;   in Loop: Header=BB4_347 Depth=2
	s_andn2_saveexec_b64 s[16:17], s[16:17]
; %bb.549:                              ;   in Loop: Header=BB4_347 Depth=2
	v_bfe_u32 v31, v2, 23, 1
; %bb.550:                              ;   in Loop: Header=BB4_347 Depth=2
	s_or_b64 exec, exec, s[16:17]
	v_lshrrev_b64 v[2:3], 20, v[2:3]
	v_cmp_gt_i32_e32 vcc, 16, v31
	v_cndmask_b32_e32 v3, 0, v3, vcc
	v_cndmask_b32_e32 v2, 7, v2, vcc
	v_cmp_eq_u64_e64 s[16:17], 0, v[2:3]
	v_min_i32_e32 v3, 15, v31
	v_lshlrev_b32_e32 v3, 3, v3
	v_cmp_eq_u32_e32 vcc, 0, v31
	v_and_b32_e32 v3, 0xf8, v3
	v_and_or_b32 v2, v2, 7, v3
	s_and_b64 s[16:17], vcc, s[16:17]
	v_cndmask_b32_e64 v2, v2, 0, s[16:17]
	v_accvgpr_read_b32 v37, a9
	v_accvgpr_read_b32 v55, a41
	v_or_b32_e32 v2, v2, v4
	v_accvgpr_read_b32 v36, a8
	v_accvgpr_read_b32 v54, a40
.LBB4_551:                              ;   in Loop: Header=BB4_347 Depth=2
	s_or_b64 exec, exec, s[48:49]
.LBB4_552:                              ;   in Loop: Header=BB4_347 Depth=2
	s_or_b64 exec, exec, s[46:47]
                                        ; implicit-def: $vgpr3
.LBB4_553:                              ;   in Loop: Header=BB4_347 Depth=2
	s_andn2_saveexec_b64 s[16:17], s[44:45]
; %bb.554:                              ;   in Loop: Header=BB4_347 Depth=2
	v_or_b32_sdwa v3, v3, s62 dst_sel:DWORD dst_unused:UNUSED_PAD src0_sel:BYTE_3 src1_sel:DWORD
	v_cmp_eq_u64_e32 vcc, 0, v[40:41]
	v_cndmask_b32_e32 v2, v3, v2, vcc
; %bb.555:                              ;   in Loop: Header=BB4_347 Depth=2
	s_or_b64 exec, exec, s[16:17]
	v_lshlrev_b32_e32 v3, 8, v11
	v_lshlrev_b32_e32 v2, 24, v2
	;; [unrolled: 1-line block ×3, first 2 shown]
	v_perm_b32 v3, v3, v5, s65
	v_cmp_lt_u32_e32 vcc, 7, v21
	v_or3_b32 v3, v2, v3, v4
	v_cndmask_b32_e64 v2, 0, 1, vcc
	;;#ASMSTART
	;;#ASMEND
	v_cmp_ne_u32_e64 s[16:17], 0, v2
	s_cmp_lg_u64 s[16:17], exec
	s_mov_b64 s[16:17], -1
	s_cbranch_scc0 .LBB4_565
; %bb.556:                              ;   in Loop: Header=BB4_347 Depth=2
	v_cmp_ne_u32_e64 s[16:17], 1, v21
	flat_store_byte v[0:1], v8
	s_and_saveexec_b64 s[44:45], s[16:17]
	s_cbranch_execnz .LBB4_567
; %bb.557:                              ;   in Loop: Header=BB4_347 Depth=2
	s_or_b64 exec, exec, s[44:45]
	v_cmp_lt_u32_e64 s[16:17], 2, v21
	s_and_saveexec_b64 s[44:45], s[16:17]
	s_cbranch_execnz .LBB4_568
.LBB4_558:                              ;   in Loop: Header=BB4_347 Depth=2
	s_or_b64 exec, exec, s[44:45]
	v_cmp_lt_u32_e64 s[16:17], 3, v21
	s_and_saveexec_b64 s[44:45], s[16:17]
	s_cbranch_execnz .LBB4_569
.LBB4_559:                              ;   in Loop: Header=BB4_347 Depth=2
	s_or_b64 exec, exec, s[44:45]
	v_cmp_lt_u32_e64 s[16:17], 4, v21
	s_and_saveexec_b64 s[44:45], s[16:17]
	s_cbranch_execnz .LBB4_570
.LBB4_560:                              ;   in Loop: Header=BB4_347 Depth=2
	s_or_b64 exec, exec, s[44:45]
	v_cmp_lt_u32_e64 s[16:17], 5, v21
	s_and_saveexec_b64 s[44:45], s[16:17]
	s_cbranch_execnz .LBB4_571
.LBB4_561:                              ;   in Loop: Header=BB4_347 Depth=2
	s_or_b64 exec, exec, s[44:45]
	v_cmp_lt_u32_e64 s[16:17], 6, v21
	s_and_saveexec_b64 s[44:45], s[16:17]
	s_cbranch_execnz .LBB4_572
.LBB4_562:                              ;   in Loop: Header=BB4_347 Depth=2
	s_or_b64 exec, exec, s[44:45]
	s_and_saveexec_b64 s[16:17], vcc
	s_cbranch_execz .LBB4_564
.LBB4_563:                              ;   in Loop: Header=BB4_347 Depth=2
	v_lshrrev_b32_e32 v2, 24, v3
	flat_store_byte v[0:1], v2 offset:7
.LBB4_564:                              ;   in Loop: Header=BB4_347 Depth=2
	s_or_b64 exec, exec, s[16:17]
	s_mov_b64 s[16:17], 0
.LBB4_565:                              ;   in Loop: Header=BB4_347 Depth=2
	s_and_b64 vcc, exec, s[16:17]
	s_cbranch_vccz .LBB4_346
; %bb.566:                              ;   in Loop: Header=BB4_347 Depth=2
	v_perm_b32 v4, v10, v27, s66
	v_lshlrev_b32_e32 v2, 8, v9
	v_perm_b32 v4, v4, v8, s67
	v_and_or_b32 v2, v2, s68, v4
	global_store_dwordx2 v[0:1], v[2:3], off
	s_branch .LBB4_346
.LBB4_567:                              ;   in Loop: Header=BB4_347 Depth=2
	flat_store_byte v[0:1], v9 offset:1
	s_or_b64 exec, exec, s[44:45]
	v_cmp_lt_u32_e64 s[16:17], 2, v21
	s_and_saveexec_b64 s[44:45], s[16:17]
	s_cbranch_execz .LBB4_558
.LBB4_568:                              ;   in Loop: Header=BB4_347 Depth=2
	flat_store_byte v[0:1], v27 offset:2
	s_or_b64 exec, exec, s[44:45]
	v_cmp_lt_u32_e64 s[16:17], 3, v21
	s_and_saveexec_b64 s[44:45], s[16:17]
	s_cbranch_execz .LBB4_559
.LBB4_569:                              ;   in Loop: Header=BB4_347 Depth=2
	flat_store_byte v[0:1], v10 offset:3
	s_or_b64 exec, exec, s[44:45]
	v_cmp_lt_u32_e64 s[16:17], 4, v21
	s_and_saveexec_b64 s[44:45], s[16:17]
	s_cbranch_execz .LBB4_560
.LBB4_570:                              ;   in Loop: Header=BB4_347 Depth=2
	flat_store_byte v[0:1], v5 offset:4
	s_or_b64 exec, exec, s[44:45]
	v_cmp_lt_u32_e64 s[16:17], 5, v21
	s_and_saveexec_b64 s[44:45], s[16:17]
	s_cbranch_execz .LBB4_561
.LBB4_571:                              ;   in Loop: Header=BB4_347 Depth=2
	flat_store_byte v[0:1], v11 offset:5
	s_or_b64 exec, exec, s[44:45]
	v_cmp_lt_u32_e64 s[16:17], 6, v21
	s_and_saveexec_b64 s[44:45], s[16:17]
	s_cbranch_execz .LBB4_562
.LBB4_572:                              ;   in Loop: Header=BB4_347 Depth=2
	flat_store_byte v[0:1], v29 offset:6
	s_or_b64 exec, exec, s[44:45]
	s_and_saveexec_b64 s[16:17], vcc
	s_cbranch_execnz .LBB4_563
	s_branch .LBB4_564
.LBB4_573:                              ;   in Loop: Header=BB4_21 Depth=1
	s_or_b64 exec, exec, s[42:43]
	v_accvgpr_read_b32 v29, a36
.LBB4_574:                              ;   in Loop: Header=BB4_21 Depth=1
	s_or_b64 exec, exec, s[18:19]
	v_accvgpr_read_b32 v25, a3
	v_accvgpr_read_b32 v24, a2
	s_and_saveexec_b64 s[16:17], s[10:11]
	s_cbranch_execz .LBB4_593
; %bb.575:                              ;   in Loop: Header=BB4_21 Depth=1
	s_and_saveexec_b64 s[18:19], s[28:29]
	s_xor_b64 s[18:19], exec, s[18:19]
	s_cbranch_execz .LBB4_590
; %bb.576:                              ;   in Loop: Header=BB4_21 Depth=1
	s_and_saveexec_b64 s[42:43], s[12:13]
	s_cbranch_execz .LBB4_589
; %bb.577:                              ;   in Loop: Header=BB4_21 Depth=1
	s_mov_b64 s[46:47], exec
	v_mbcnt_lo_u32_b32 v0, s46, 0
	v_mbcnt_hi_u32_b32 v0, s47, v0
	v_cmp_eq_u32_e32 vcc, 0, v0
	s_waitcnt vmcnt(0) lgkmcnt(0)
	buffer_wbinvl1_vol
	s_and_saveexec_b64 s[44:45], vcc
	s_cbranch_execz .LBB4_579
; %bb.578:                              ;   in Loop: Header=BB4_21 Depth=1
	s_bcnt1_i32_b64 vcc_lo, s[46:47]
	v_mov_b32_e32 v40, vcc_lo
	ds_add_u64 v0, v[40:41]
	s_trap 2
.LBB4_579:                              ;   in Loop: Header=BB4_21 Depth=1
	s_or_b64 exec, exec, s[44:45]
	s_trap 2
	ds_read_b64 v[0:1], v0
	v_accvgpr_read_b32 v2, a26
	v_add_co_u32_e32 v42, vcc, v42, v2
	v_accvgpr_read_b32 v3, a27
	v_addc_co_u32_e32 v43, vcc, v43, v3, vcc
	s_waitcnt lgkmcnt(0)
	v_cmp_lt_u64_e32 vcc, v[0:1], v[42:43]
	s_and_saveexec_b64 s[44:45], vcc
	s_cbranch_execz .LBB4_588
; %bb.580:                              ;   in Loop: Header=BB4_21 Depth=1
	s_mov_b32 s56, 0
	s_mov_b64 s[46:47], 0
                                        ; implicit-def: $sgpr48_sgpr49
                                        ; implicit-def: $sgpr50_sgpr51
	s_branch .LBB4_582
.LBB4_581:                              ;   in Loop: Header=BB4_582 Depth=2
	s_or_b64 exec, exec, s[54:55]
	s_and_b64 vcc, exec, vcc
	s_or_b64 s[46:47], vcc, s[46:47]
	s_andn2_b64 vcc, s[48:49], exec
	s_and_b64 s[48:49], s[50:51], exec
	s_or_b64 s[48:49], vcc, s[48:49]
	s_andn2_b64 exec, exec, s[46:47]
	s_cbranch_execz .LBB4_586
.LBB4_582:                              ;   Parent Loop BB4_21 Depth=1
                                        ; =>  This Inner Loop Header: Depth=2
	s_add_i32 s56, s56, 1
	s_cmpk_lg_i32 s56, 0x2710
	s_cselect_b64 s[52:53], -1, 0
	s_and_b64 vcc, exec, s[52:53]
                                        ; implicit-def: $sgpr54_sgpr55
	s_cbranch_vccnz .LBB4_584
; %bb.583:                              ;   in Loop: Header=BB4_582 Depth=2
	s_trap 2
	ds_read_b64 v[0:1], v0
	s_andn2_b64 s[52:53], s[52:53], exec
	s_mov_b32 s56, 0
	s_mov_b64 s[54:55], -1
	s_waitcnt lgkmcnt(0)
	flat_load_dword v0, v[0:1] glc
	s_waitcnt vmcnt(0) lgkmcnt(0)
	buffer_invl2
	buffer_wbinvl1_vol
	v_cmp_eq_u32_e32 vcc, 0, v0
	s_and_b64 vcc, vcc, exec
	s_or_b64 s[52:53], s[52:53], vcc
.LBB4_584:                              ;   in Loop: Header=BB4_582 Depth=2
	s_andn2_b64 s[50:51], s[50:51], exec
	s_and_b64 s[54:55], s[54:55], exec
	s_mov_b64 vcc, -1
	s_or_b64 s[50:51], s[50:51], s[54:55]
	s_and_saveexec_b64 s[54:55], s[52:53]
	s_cbranch_execz .LBB4_581
; %bb.585:                              ;   in Loop: Header=BB4_582 Depth=2
	s_sleep 1
	s_trap 2
	ds_read_b64 v[0:1], v0
	s_andn2_b64 s[50:51], s[50:51], exec
	s_waitcnt lgkmcnt(0)
	v_cmp_ge_u64_e32 vcc, v[0:1], v[42:43]
	s_orn2_b64 vcc, vcc, exec
	s_branch .LBB4_581
.LBB4_586:                              ;   in Loop: Header=BB4_21 Depth=1
	s_or_b64 exec, exec, s[46:47]
	s_and_saveexec_b64 vcc, s[48:49]
	s_xor_b64 vcc, exec, vcc
	s_cbranch_execz .LBB4_588
; %bb.587:                              ;   in Loop: Header=BB4_21 Depth=1
	v_mov_b32_e32 v0, 1
	ds_write_b32 v0, v0
	s_trap 2
.LBB4_588:                              ;   in Loop: Header=BB4_21 Depth=1
	s_or_b64 exec, exec, s[44:45]
	;;#ASMSTART
	s_wakeup
	;;#ASMEND
.LBB4_589:                              ;   in Loop: Header=BB4_21 Depth=1
	s_or_b64 exec, exec, s[42:43]
.LBB4_590:                              ;   in Loop: Header=BB4_21 Depth=1
	s_andn2_saveexec_b64 s[18:19], s[18:19]
	s_cbranch_execz .LBB4_592
; %bb.591:                              ;   in Loop: Header=BB4_21 Depth=1
	s_waitcnt vmcnt(0) lgkmcnt(0)
	buffer_wbinvl1_vol
	s_barrier
.LBB4_592:                              ;   in Loop: Header=BB4_21 Depth=1
	s_or_b64 exec, exec, s[18:19]
.LBB4_593:                              ;   in Loop: Header=BB4_21 Depth=1
	s_or_b64 exec, exec, s[16:17]
	s_and_saveexec_b64 s[16:17], s[14:15]
	s_cbranch_execz .LBB4_20
; %bb.594:                              ;   in Loop: Header=BB4_21 Depth=1
	v_add_co_u32_e32 v38, vcc, 1, v38
	v_accvgpr_read_b32 v0, a20
	v_addc_co_u32_e32 v39, vcc, 0, v39, vcc
	v_accvgpr_read_b32 v1, a21
	flat_store_dwordx2 v[0:1], v[38:39]
	s_branch .LBB4_20
.LBB4_595:
	s_or_b64 exec, exec, s[26:27]
	v_accvgpr_read_b32 v19, a13
	v_accvgpr_read_b32 v27, a15
	;; [unrolled: 1-line block ×6, first 2 shown]
.LBB4_596:
	s_or_b64 exec, exec, s[24:25]
; %bb.597:
	s_and_saveexec_b64 s[6:7], s[22:23]
	s_cbranch_execnz .LBB4_600
; %bb.598:
	s_or_b64 exec, exec, s[6:7]
	s_and_saveexec_b64 s[6:7], s[4:5]
	s_cbranch_execnz .LBB4_601
.LBB4_599:
	s_or_b64 exec, exec, s[6:7]
	v_cmp_ne_u32_e32 vcc, 64, v20
	s_and_saveexec_b64 s[4:5], vcc
	s_cbranch_execnz .LBB4_602
	s_branch .LBB4_619
.LBB4_600:
	s_waitcnt vmcnt(0) lgkmcnt(0)
	flat_store_dwordx2 v[26:27], v[38:39] offset:104
	s_or_b64 exec, exec, s[6:7]
	s_and_saveexec_b64 s[6:7], s[4:5]
	s_cbranch_execz .LBB4_599
.LBB4_601:
	s_waitcnt vmcnt(0) lgkmcnt(0)
	flat_store_dwordx2 v[18:19], v[14:15] offset:104
	s_or_b64 exec, exec, s[6:7]
	v_cmp_ne_u32_e32 vcc, 64, v20
	s_and_saveexec_b64 s[4:5], vcc
	s_cbranch_execz .LBB4_619
.LBB4_602:
	v_cmp_ne_u32_sdwa s[6:7], v9, v20 src0_sel:WORD_0 src1_sel:DWORD
	s_and_saveexec_b64 s[8:9], s[6:7]
	s_xor_b64 s[6:7], exec, s[8:9]
	s_cbranch_execz .LBB4_617
; %bb.603:
	v_and_b32_e32 v0, 63, v31
	v_cmp_eq_u32_e32 vcc, 0, v0
	s_and_saveexec_b64 s[8:9], vcc
	s_cbranch_execz .LBB4_616
; %bb.604:
	s_mov_b64 s[12:13], exec
	v_mbcnt_lo_u32_b32 v0, s12, 0
	v_mbcnt_hi_u32_b32 v0, s13, v0
	v_cmp_eq_u32_e32 vcc, 0, v0
	s_waitcnt vmcnt(0) lgkmcnt(0)
	buffer_wbinvl1_vol
	s_and_saveexec_b64 s[10:11], vcc
	s_cbranch_execz .LBB4_606
; %bb.605:
	s_bcnt1_i32_b64 s12, s[12:13]
	v_mov_b32_e32 v0, s12
	v_mov_b32_e32 v1, 0
	ds_add_u64 v0, v[0:1]
	s_trap 2
.LBB4_606:
	s_or_b64 exec, exec, s[10:11]
	v_ashrrev_i32_e32 v0, 31, v20
	v_lshrrev_b32_e32 v0, 26, v0
	v_add_u32_e32 v0, v20, v0
	v_ashrrev_i32_e32 v0, 6, v0
	s_trap 2
	ds_read_b64 v[2:3], v0
	v_ashrrev_i32_e32 v1, 31, v0
	v_add_co_u32_e32 v0, vcc, v42, v0
	v_addc_co_u32_e32 v1, vcc, v43, v1, vcc
	s_waitcnt lgkmcnt(0)
	v_cmp_lt_u64_e32 vcc, v[2:3], v[0:1]
	s_and_saveexec_b64 s[10:11], vcc
	s_cbranch_execz .LBB4_615
; %bb.607:
	s_mov_b32 s24, 0
	s_mov_b64 s[12:13], 0
                                        ; implicit-def: $sgpr14_sgpr15
                                        ; implicit-def: $sgpr16_sgpr17
	s_branch .LBB4_609
.LBB4_608:                              ;   in Loop: Header=BB4_609 Depth=1
	s_or_b64 exec, exec, s[22:23]
	s_and_b64 s[18:19], exec, s[20:21]
	s_or_b64 s[12:13], s[18:19], s[12:13]
	s_andn2_b64 s[14:15], s[14:15], exec
	s_and_b64 s[18:19], s[16:17], exec
	s_or_b64 s[14:15], s[14:15], s[18:19]
	s_andn2_b64 exec, exec, s[12:13]
	s_cbranch_execz .LBB4_613
.LBB4_609:                              ; =>This Inner Loop Header: Depth=1
	s_add_i32 s24, s24, 1
	s_cmpk_lg_i32 s24, 0x2710
	s_cselect_b64 s[18:19], -1, 0
	s_and_b64 vcc, exec, s[18:19]
                                        ; implicit-def: $sgpr22_sgpr23
	s_cbranch_vccnz .LBB4_611
; %bb.610:                              ;   in Loop: Header=BB4_609 Depth=1
	s_trap 2
	ds_read_b64 v[2:3], v0
	s_andn2_b64 s[18:19], s[18:19], exec
	s_mov_b32 s24, 0
	s_mov_b64 s[22:23], -1
	s_waitcnt lgkmcnt(0)
	flat_load_dword v2, v[2:3] glc
	s_waitcnt vmcnt(0) lgkmcnt(0)
	buffer_invl2
	buffer_wbinvl1_vol
	v_cmp_eq_u32_e32 vcc, 0, v2
	s_and_b64 s[20:21], vcc, exec
	s_or_b64 s[18:19], s[18:19], s[20:21]
.LBB4_611:                              ;   in Loop: Header=BB4_609 Depth=1
	s_andn2_b64 s[16:17], s[16:17], exec
	s_and_b64 s[22:23], s[22:23], exec
	s_mov_b64 s[20:21], -1
	s_or_b64 s[16:17], s[16:17], s[22:23]
	s_and_saveexec_b64 s[22:23], s[18:19]
	s_cbranch_execz .LBB4_608
; %bb.612:                              ;   in Loop: Header=BB4_609 Depth=1
	s_sleep 1
	s_trap 2
	ds_read_b64 v[2:3], v0
	s_andn2_b64 s[16:17], s[16:17], exec
	s_waitcnt lgkmcnt(0)
	v_cmp_ge_u64_e32 vcc, v[2:3], v[0:1]
	s_orn2_b64 s[20:21], vcc, exec
	s_branch .LBB4_608
.LBB4_613:
	s_or_b64 exec, exec, s[12:13]
	s_and_saveexec_b64 s[12:13], s[14:15]
	s_xor_b64 s[12:13], exec, s[12:13]
	s_cbranch_execz .LBB4_615
; %bb.614:
	v_mov_b32_e32 v0, 1
	ds_write_b32 v0, v0
	s_trap 2
.LBB4_615:
	s_or_b64 exec, exec, s[10:11]
	;;#ASMSTART
	s_wakeup
	;;#ASMEND
.LBB4_616:
	s_or_b64 exec, exec, s[8:9]
.LBB4_617:
	s_andn2_saveexec_b64 s[6:7], s[6:7]
	s_cbranch_execz .LBB4_619
; %bb.618:
	s_waitcnt vmcnt(0) lgkmcnt(0)
	buffer_wbinvl1_vol
	s_barrier
.LBB4_619:
	s_or_b64 exec, exec, s[4:5]
	buffer_load_dword a45, off, s[0:3], s32 ; 4-byte Folded Reload
	buffer_load_dword a44, off, s[0:3], s32 offset:4 ; 4-byte Folded Reload
	buffer_load_dword a43, off, s[0:3], s32 offset:8 ; 4-byte Folded Reload
	;; [unrolled: 1-line block ×28, first 2 shown]
	v_readlane_b32 s30, v63, 37
	v_readlane_b32 s31, v63, 38
	;; [unrolled: 1-line block ×39, first 2 shown]
	s_or_saveexec_b64 s[4:5], -1
	buffer_load_dword v63, off, s[0:3], s32 offset:116 ; 4-byte Folded Reload
	s_mov_b64 exec, s[4:5]
	s_waitcnt vmcnt(0) lgkmcnt(0)
	s_setpc_b64 s[30:31]
.Lfunc_end4:
	.size	_ZN12_GLOBAL__N_17runRingI14__hip_fp8_e4m38FuncProdIS1_E7ProtoLLLi0ELi4ELi0EEEviiP15ncclDevWorkColl, .Lfunc_end4-_ZN12_GLOBAL__N_17runRingI14__hip_fp8_e4m38FuncProdIS1_E7ProtoLLLi0ELi4ELi0EEEviiP15ncclDevWorkColl
                                        ; -- End function
	.section	.AMDGPU.csdata,"",@progbits
; Function info:
; codeLenInByte = 20972
; NumSgprs: 75
; NumVgprs: 64
; NumAgprs: 46
; TotalNumVgprs: 110
; ScratchSize: 124
; MemoryBound: 0
	.text
	.p2align	2                               ; -- Begin function _Z51ncclDevFunc_ReduceScatter_RING_LL_Prod_f8e4m3_0_0_4v
	.type	_Z51ncclDevFunc_ReduceScatter_RING_LL_Prod_f8e4m3_0_0_4v,@function
_Z51ncclDevFunc_ReduceScatter_RING_LL_Prod_f8e4m3_0_0_4v: ; @_Z51ncclDevFunc_ReduceScatter_RING_LL_Prod_f8e4m3_0_0_4v
; %bb.0:
	s_waitcnt vmcnt(0) expcnt(0) lgkmcnt(0)
	s_mov_b32 s4, s33
	s_mov_b32 s33, s32
	s_or_saveexec_b64 s[6:7], -1
	buffer_store_dword v43, off, s[0:3], s33 offset:16 ; 4-byte Folded Spill
	s_mov_b64 exec, s[6:7]
	v_writelane_b32 v43, s4, 47
	s_addk_i32 s32, 0x800
	buffer_store_dword v40, off, s[0:3], s33 offset:12 ; 4-byte Folded Spill
	buffer_store_dword v41, off, s[0:3], s33 offset:8 ; 4-byte Folded Spill
	;; [unrolled: 1-line block ×3, first 2 shown]
	buffer_store_dword v63, off, s[0:3], s33 ; 4-byte Folded Spill
	v_writelane_b32 v43, s34, 0
	v_writelane_b32 v43, s35, 1
	;; [unrolled: 1-line block ×47, first 2 shown]
	s_trap 2
	ds_read_b32 v0, v0
	v_mov_b32_e32 v40, v31
	s_mov_b32 s71, s12
	s_mov_b64 s[72:73], s[8:9]
	s_waitcnt lgkmcnt(0)
	v_cmp_gt_i32_e32 vcc, 1, v0
	s_cbranch_vccnz .LBB5_8
; %bb.1:
	s_mov_b32 s78, 0
	v_and_b32_e32 v41, 0x3ff, v40
	s_mov_b64 s[74:75], src_shared_base
	v_mov_b32_e32 v42, 6
	s_branch .LBB5_3
.LBB5_2:                                ;   in Loop: Header=BB5_3 Depth=1
	s_or_b64 exec, exec, s[76:77]
	s_trap 2
	ds_read_b32 v0, v0
	s_add_i32 s78, s78, 1
	s_waitcnt lgkmcnt(0)
	v_cmp_lt_i32_e32 vcc, s78, v0
	s_cbranch_vccz .LBB5_8
.LBB5_3:                                ; =>This Inner Loop Header: Depth=1
	s_trap 2
	ds_read_b32 v0, v0
	s_cmp_eq_u32 s78, 0
	s_cbranch_scc1 .LBB5_6
; %bb.4:                                ;   in Loop: Header=BB5_3 Depth=1
	s_trap 2
	s_waitcnt lgkmcnt(0)
	ds_read_b32 v1, v0
	s_waitcnt lgkmcnt(0)
	v_xor_b32_e32 v1, v1, v0
	v_and_b32_e32 v1, 0xff0000, v1
	v_cmp_eq_u32_e32 vcc, 0, v1
	s_cbranch_vccnz .LBB5_6
; %bb.5:                                ;   in Loop: Header=BB5_3 Depth=1
	s_barrier
	ds_read_b32 v0, v0
.LBB5_6:                                ;   in Loop: Header=BB5_3 Depth=1
	s_waitcnt lgkmcnt(0)
	v_lshlrev_b32_sdwa v1, v42, v0 dst_sel:DWORD dst_unused:UNUSED_PAD src0_sel:DWORD src1_sel:BYTE_2
	v_cmp_lt_u32_e32 vcc, v41, v1
	s_and_saveexec_b64 s[76:77], vcc
	s_cbranch_execz .LBB5_2
; %bb.7:                                ;   in Loop: Header=BB5_3 Depth=1
	s_mov_b64 s[8:9], s[72:73]
	s_mov_b32 s12, s71
	v_mov_b32_e32 v31, v40
	v_mov_b32_e32 v0, v41
	;; [unrolled: 1-line block ×3, first 2 shown]
	s_getpc_b64 s[4:5]
	s_add_u32 s4, s4, _ZN12_GLOBAL__N_17runRingI14__hip_fp8_e4m38FuncProdIS1_E7ProtoLLLi0ELi4ELi0EEEviiP15ncclDevWorkColl@rel32@lo+4
	s_addc_u32 s5, s5, _ZN12_GLOBAL__N_17runRingI14__hip_fp8_e4m38FuncProdIS1_E7ProtoLLLi0ELi4ELi0EEEviiP15ncclDevWorkColl@rel32@hi+12
	s_swappc_b64 s[30:31], s[4:5]
	s_branch .LBB5_2
.LBB5_8:
	buffer_load_dword v63, off, s[0:3], s33 ; 4-byte Folded Reload
	buffer_load_dword v42, off, s[0:3], s33 offset:4 ; 4-byte Folded Reload
	buffer_load_dword v41, off, s[0:3], s33 offset:8 ; 4-byte Folded Reload
	;; [unrolled: 1-line block ×3, first 2 shown]
	v_readlane_b32 s30, v43, 45
	v_readlane_b32 s31, v43, 46
	;; [unrolled: 1-line block ×48, first 2 shown]
	s_or_saveexec_b64 s[6:7], -1
	buffer_load_dword v43, off, s[0:3], s33 offset:16 ; 4-byte Folded Reload
	s_mov_b64 exec, s[6:7]
	s_addk_i32 s32, 0xf800
	s_mov_b32 s33, s4
	s_waitcnt vmcnt(0)
	s_setpc_b64 s[30:31]
.Lfunc_end5:
	.size	_Z51ncclDevFunc_ReduceScatter_RING_LL_Prod_f8e4m3_0_0_4v, .Lfunc_end5-_Z51ncclDevFunc_ReduceScatter_RING_LL_Prod_f8e4m3_0_0_4v
                                        ; -- End function
	.section	.AMDGPU.csdata,"",@progbits
; Function info:
; codeLenInByte = 1132
; NumSgprs: 83
; NumVgprs: 64
; NumAgprs: 46
; TotalNumVgprs: 110
; ScratchSize: 156
; MemoryBound: 0
	.text
	.p2alignl 6, 3212836864
	.fill 256, 4, 3212836864
	.type	__hip_cuid_e999022d5a7f2e9,@object ; @__hip_cuid_e999022d5a7f2e9
	.section	.bss,"aw",@nobits
	.globl	__hip_cuid_e999022d5a7f2e9
__hip_cuid_e999022d5a7f2e9:
	.byte	0                               ; 0x0
	.size	__hip_cuid_e999022d5a7f2e9, 1

	.ident	"AMD clang version 19.0.0git (https://github.com/RadeonOpenCompute/llvm-project roc-6.4.0 25133 c7fe45cf4b819c5991fe208aaa96edf142730f1d)"
	.section	".note.GNU-stack","",@progbits
	.addrsig
	.addrsig_sym _Z51ncclDevFunc_ReduceScatter_RING_LL_Prod_f8e4m3_0_0_1v
	.addrsig_sym _Z51ncclDevFunc_ReduceScatter_RING_LL_Prod_f8e4m3_0_0_2v
	.addrsig_sym _Z51ncclDevFunc_ReduceScatter_RING_LL_Prod_f8e4m3_0_0_4v
	.addrsig_sym ncclShmem
	.addrsig_sym __hip_cuid_e999022d5a7f2e9
	.amdgpu_metadata
---
amdhsa.kernels:  []
amdhsa.target:   amdgcn-amd-amdhsa--gfx90a
amdhsa.version:
  - 1
  - 2
...

	.end_amdgpu_metadata
